;; amdgpu-corpus repo=zjin-lcf/HeCBench kind=compiled arch=gfx1250 opt=O3
	.amdgcn_target "amdgcn-amd-amdhsa--gfx1250"
	.amdhsa_code_object_version 6
	.text
	.protected	_Z19selective_scan_basePKfS0_S0_S0_S0_S0_S0_S0_biiiiPfS1_ ; -- Begin function _Z19selective_scan_basePKfS0_S0_S0_S0_S0_S0_S0_biiiiPfS1_
	.globl	_Z19selective_scan_basePKfS0_S0_S0_S0_S0_S0_S0_biiiiPfS1_
	.p2align	8
	.type	_Z19selective_scan_basePKfS0_S0_S0_S0_S0_S0_S0_biiiiPfS1_,@function
_Z19selective_scan_basePKfS0_S0_S0_S0_S0_S0_S0_biiiiPfS1_: ; @_Z19selective_scan_basePKfS0_S0_S0_S0_S0_S0_S0_biiiiPfS1_
; %bb.0:
	s_clause 0x1
	s_load_b32 s2, s[0:1], 0x74
	s_load_b128 s[12:15], s[0:1], 0x40
	s_bfe_u32 s4, ttmp6, 0x4000c
	s_bfe_u32 s5, ttmp6, 0x40010
	s_add_co_i32 s4, s4, 1
	s_add_co_i32 s5, s5, 1
	s_and_b32 s3, ttmp6, 15
	s_bfe_u32 s6, ttmp6, 0x40004
	s_mul_i32 s4, ttmp9, s4
	s_mul_i32 s5, ttmp7, s5
	s_getreg_b32 s7, hwreg(HW_REG_IB_STS2, 6, 4)
	s_add_co_i32 s3, s3, s4
	s_add_co_i32 s6, s6, s5
	s_wait_kmcnt 0x0
	s_and_b32 s2, s2, 0xffff
	s_cmp_eq_u32 s7, 0
	s_cselect_b32 s4, ttmp7, s6
	s_cselect_b32 s23, ttmp9, s3
	v_mad_u32 v12, s4, s2, v0
	s_cmp_lt_i32 s23, s13
	s_cselect_b32 s2, -1, 0
	s_delay_alu instid0(VALU_DEP_1) | instskip(SKIP_1) | instid1(SALU_CYCLE_1)
	v_cmp_gt_i32_e32 vcc_lo, s14, v12
	s_and_b32 s2, s2, vcc_lo
	s_and_saveexec_b32 s3, s2
	s_cbranch_execz .LBB0_16
; %bb.1:
	s_clause 0x1
	s_load_b128 s[4:7], s[0:1], 0x28
	s_load_b64 s[16:17], s[0:1], 0x0
	v_mad_u32 v13, s14, s23, v12
	s_cmp_gt_i32 s15, 0
	s_wait_kmcnt 0x0
	s_clause 0x1
	global_load_b32 v18, v12, s[6:7] scale_offset
	global_load_b32 v19, v12, s[4:5] scale_offset
	s_clause 0x1
	s_load_b64 s[2:3], s[0:1], 0x58
	s_load_b32 s22, s[0:1], 0x50
	v_mul_lo_u32 v8, v13, s15
	s_cselect_b32 s14, -1, 0
	s_cmp_lt_i32 s15, 1
	s_cbranch_scc1 .LBB0_4
; %bb.2:
	s_delay_alu instid0(VALU_DEP_1) | instskip(SKIP_2) | instid1(VALU_DEP_1)
	v_dual_mov_b32 v0, 0 :: v_dual_ashrrev_i32 v9, 31, v8
	s_mov_b64 s[4:5], 0
	s_wait_kmcnt 0x0
	v_lshl_add_u64 v[10:11], v[8:9], 2, s[2:3]
	s_delay_alu instid0(VALU_DEP_2)
	v_dual_mov_b32 v1, v0 :: v_dual_mov_b32 v2, v0
	v_dual_mov_b32 v3, v0 :: v_dual_mov_b32 v4, v0
	;; [unrolled: 1-line block ×3, first 2 shown]
	v_mov_b32_e32 v7, v0
.LBB0_3:                                ; =>This Inner Loop Header: Depth=1
	global_load_b32 v9, v[10:11], off
	s_wait_xcnt 0x0
	v_add_nc_u64_e32 v[10:11], 4, v[10:11]
	s_mov_b32 m0, s4
	s_add_nc_u64 s[4:5], s[4:5], 1
	s_delay_alu instid0(SALU_CYCLE_1)
	s_cmp_eq_u32 s15, s4
	s_wait_loadcnt 0x0
	v_movreld_b32_e32 v0, v9
	s_cbranch_scc0 .LBB0_3
	s_branch .LBB0_5
.LBB0_4:
	v_mov_b32_e32 v0, 0
	s_delay_alu instid0(VALU_DEP_1)
	v_dual_mov_b32 v1, v0 :: v_dual_mov_b32 v2, v0
	v_dual_mov_b32 v3, v0 :: v_dual_mov_b32 v4, v0
	;; [unrolled: 1-line block ×3, first 2 shown]
	v_mov_b32_e32 v7, v0
.LBB0_5:
	s_clause 0x2
	s_load_b256 s[4:11], s[0:1], 0x8
	s_load_b64 s[18:19], s[0:1], 0x60
	s_load_b64 s[20:21], s[0:1], 0x38
	s_wait_kmcnt 0x0
	s_cmp_lt_i32 s22, 1
	s_cbranch_scc1 .LBB0_13
; %bb.6:
	v_mul_lo_u32 v10, v12, s15
	v_mul_lo_u32 v9, v13, s22
	s_bitcmp1_b32 s12, 0
	s_mov_b32 s24, 0
	s_cselect_b32 s0, -1, 0
	s_cmp_lg_u64 s[20:21], 0
	s_cselect_b32 s1, -1, 0
	s_delay_alu instid0(VALU_DEP_2) | instskip(NEXT) | instid1(VALU_DEP_1)
	v_ashrrev_i32_e32 v11, 31, v10
	v_lshl_add_u64 v[10:11], v[10:11], 2, s[6:7]
	s_mul_i32 s6, s23, s22
	s_delay_alu instid0(SALU_CYCLE_1)
	s_mul_i32 s23, s6, s15
	s_branch .LBB0_8
.LBB0_7:                                ;   in Loop: Header=BB0_8 Depth=1
	s_wait_xcnt 0x0
	v_lshl_add_u64 v[12:13], v[12:13], 2, s[18:19]
	s_add_co_i32 s24, s24, 1
	s_add_co_i32 s23, s23, 1
	s_cmp_eq_u32 s24, s22
	global_store_b32 v[12:13], v20, off
	s_cbranch_scc1 .LBB0_13
.LBB0_8:                                ; =>This Loop Header: Depth=1
                                        ;     Child Loop BB0_10 Depth 2
	s_wait_xcnt 0x0
	v_add_nc_u32_e32 v12, s24, v9
	s_and_not1_b32 vcc_lo, exec_lo, s14
	global_load_b32 v14, v12, s[16:17] scale_offset
	s_wait_loadcnt 0x0
	v_dual_mul_f32 v20, v19, v14 :: v_dual_ashrrev_i32 v13, 31, v12
	s_cbranch_vccnz .LBB0_11
; %bb.9:                                ;   in Loop: Header=BB0_8 Depth=1
	s_delay_alu instid0(VALU_DEP_1)
	v_lshl_add_u64 v[16:17], v[12:13], 2, s[4:5]
	s_mov_b64 s[6:7], 0
	s_mov_b32 s12, s23
	global_load_b32 v15, v[16:17], off
	s_wait_loadcnt 0x0
	v_add_f32_e32 v15, v18, v15
	s_wait_xcnt 0x0
	s_delay_alu instid0(VALU_DEP_1) | instskip(NEXT) | instid1(VALU_DEP_1)
	v_mul_f32_e32 v16, 0x3fb8aa3b, v15
	v_exp_f32_e32 v16, v16
	v_nop
	s_delay_alu instid0(TRANS32_DEP_1) | instskip(NEXT) | instid1(VALU_DEP_1)
	v_add_f32_e32 v16, 1.0, v16
	v_cmp_gt_f32_e32 vcc_lo, 0x800000, v16
	v_cndmask_b32_e64 v17, 0, 32, vcc_lo
	v_cndmask_b32_e64 v21, 0, 0x41b17218, vcc_lo
	s_delay_alu instid0(VALU_DEP_2) | instskip(NEXT) | instid1(VALU_DEP_1)
	v_ldexp_f32 v16, v16, v17
	v_log_f32_e32 v16, v16
	v_nop
	s_delay_alu instid0(TRANS32_DEP_1) | instskip(SKIP_1) | instid1(VALU_DEP_2)
	v_mul_f32_e32 v17, 0x3f317217, v16
	v_cmp_gt_f32_e64 vcc_lo, 0x7f800000, |v16|
	v_fma_f32 v17, 0x3f317217, v16, -v17
	s_delay_alu instid0(VALU_DEP_1) | instskip(NEXT) | instid1(VALU_DEP_1)
	v_fmac_f32_e32 v17, 0x3377d1cf, v16
	v_fmac_f32_e32 v17, 0x3f317217, v16
	s_delay_alu instid0(VALU_DEP_1) | instskip(SKIP_1) | instid1(VALU_DEP_2)
	v_cndmask_b32_e32 v16, v16, v17, vcc_lo
	v_cmp_lt_f32_e32 vcc_lo, 0x41a00000, v15
	v_sub_f32_e32 v16, v16, v21
	s_delay_alu instid0(VALU_DEP_1) | instskip(NEXT) | instid1(VALU_DEP_1)
	v_cndmask_b32_e32 v16, v16, v15, vcc_lo
	v_cndmask_b32_e64 v21, v15, v16, s0
	v_mov_b64_e32 v[16:17], v[10:11]
.LBB0_10:                               ;   Parent Loop BB0_8 Depth=1
                                        ; =>  This Inner Loop Header: Depth=2
	global_load_b32 v15, v[16:17], off
	s_ashr_i32 s13, s12, 31
	s_mov_b32 m0, s6
	s_lshl_b64 s[26:27], s[12:13], 2
	s_wait_xcnt 0x0
	v_add_nc_u64_e32 v[16:17], 4, v[16:17]
	s_add_nc_u64 s[28:29], s[8:9], s[26:27]
	s_add_nc_u64 s[26:27], s[10:11], s[26:27]
	s_load_b32 s13, s[28:29], 0x0
	s_add_nc_u64 s[6:7], s[6:7], 1
	s_add_co_i32 s12, s12, s22
	s_cmp_eq_u32 s15, s6
	s_wait_loadcnt 0x0
	v_mul_f32_e32 v15, v21, v15
	s_delay_alu instid0(VALU_DEP_1) | instskip(SKIP_1) | instid1(VALU_DEP_2)
	v_mul_f32_e32 v22, 0x3fb8aa3b, v15
	v_movrels_b32_e32 v15, v0
	v_exp_f32_e32 v23, v22
	s_wait_kmcnt 0x0
	v_nop
	v_mul_f32_e32 v22, s13, v21
	s_load_b32 s13, s[26:27], 0x0
	s_delay_alu instid0(TRANS32_DEP_1) | instid1(VALU_DEP_1)
	v_pk_mul_f32 v[22:23], v[14:15], v[22:23]
	s_delay_alu instid0(VALU_DEP_1) | instskip(NEXT) | instid1(VALU_DEP_1)
	v_add_f32_e32 v15, v22, v23
	v_movreld_b32_e32 v0, v15
	s_wait_kmcnt 0x0
	v_fmac_f32_e32 v20, s13, v15
	s_cbranch_scc0 .LBB0_10
.LBB0_11:                               ;   in Loop: Header=BB0_8 Depth=1
	s_and_b32 vcc_lo, exec_lo, s1
	s_cbranch_vccz .LBB0_7
; %bb.12:                               ;   in Loop: Header=BB0_8 Depth=1
	s_delay_alu instid0(VALU_DEP_1) | instskip(SKIP_4) | instid1(VALU_DEP_1)
	v_lshl_add_u64 v[14:15], v[12:13], 2, s[20:21]
	global_load_b32 v14, v[14:15], off
	s_wait_loadcnt 0x0
	s_wait_xcnt 0x0
	v_mul_f32_e32 v15, 0xbfb8aa3b, v14
	v_exp_f32_e32 v15, v15
	v_nop
	s_delay_alu instid0(TRANS32_DEP_1) | instskip(NEXT) | instid1(VALU_DEP_1)
	v_add_f32_e32 v15, 1.0, v15
	v_div_scale_f32 v16, null, v15, v15, v14
	s_delay_alu instid0(VALU_DEP_1) | instskip(SKIP_1) | instid1(TRANS32_DEP_1)
	v_rcp_f32_e32 v17, v16
	v_nop
	v_fma_f32 v21, -v16, v17, 1.0
	s_delay_alu instid0(VALU_DEP_1) | instskip(SKIP_1) | instid1(VALU_DEP_1)
	v_fmac_f32_e32 v17, v21, v17
	v_div_scale_f32 v21, vcc_lo, v14, v15, v14
	v_mul_f32_e32 v22, v21, v17
	s_delay_alu instid0(VALU_DEP_1) | instskip(NEXT) | instid1(VALU_DEP_1)
	v_fma_f32 v23, -v16, v22, v21
	v_fmac_f32_e32 v22, v23, v17
	s_delay_alu instid0(VALU_DEP_1) | instskip(NEXT) | instid1(VALU_DEP_1)
	v_fma_f32 v16, -v16, v22, v21
	v_div_fmas_f32 v16, v16, v17, v22
	s_delay_alu instid0(VALU_DEP_1) | instskip(NEXT) | instid1(VALU_DEP_1)
	v_div_fixup_f32 v14, v16, v15, v14
	v_mul_f32_e32 v20, v20, v14
	s_branch .LBB0_7
.LBB0_13:
	s_and_not1_b32 vcc_lo, exec_lo, s14
	s_cbranch_vccnz .LBB0_16
; %bb.14:
	v_ashrrev_i32_e32 v9, 31, v8
	s_mov_b64 s[0:1], 0
	s_delay_alu instid0(VALU_DEP_1)
	v_lshl_add_u64 v[8:9], v[8:9], 2, s[2:3]
.LBB0_15:                               ; =>This Inner Loop Header: Depth=1
	s_mov_b32 m0, s0
	s_add_nc_u64 s[0:1], s[0:1], 1
	v_movrels_b32_e32 v10, v0
	s_cmp_lg_u32 s15, s0
	global_store_b32 v[8:9], v10, off
	s_wait_xcnt 0x0
	v_add_nc_u64_e32 v[8:9], 4, v[8:9]
	s_cbranch_scc1 .LBB0_15
.LBB0_16:
	s_endpgm
	.section	.rodata,"a",@progbits
	.p2align	6, 0x0
	.amdhsa_kernel _Z19selective_scan_basePKfS0_S0_S0_S0_S0_S0_S0_biiiiPfS1_
		.amdhsa_group_segment_fixed_size 0
		.amdhsa_private_segment_fixed_size 0
		.amdhsa_kernarg_size 360
		.amdhsa_user_sgpr_count 2
		.amdhsa_user_sgpr_dispatch_ptr 0
		.amdhsa_user_sgpr_queue_ptr 0
		.amdhsa_user_sgpr_kernarg_segment_ptr 1
		.amdhsa_user_sgpr_dispatch_id 0
		.amdhsa_user_sgpr_kernarg_preload_length 0
		.amdhsa_user_sgpr_kernarg_preload_offset 0
		.amdhsa_user_sgpr_private_segment_size 0
		.amdhsa_wavefront_size32 1
		.amdhsa_uses_dynamic_stack 0
		.amdhsa_enable_private_segment 0
		.amdhsa_system_sgpr_workgroup_id_x 1
		.amdhsa_system_sgpr_workgroup_id_y 1
		.amdhsa_system_sgpr_workgroup_id_z 0
		.amdhsa_system_sgpr_workgroup_info 0
		.amdhsa_system_vgpr_workitem_id 0
		.amdhsa_next_free_vgpr 24
		.amdhsa_next_free_sgpr 30
		.amdhsa_named_barrier_count 0
		.amdhsa_reserve_vcc 1
		.amdhsa_float_round_mode_32 0
		.amdhsa_float_round_mode_16_64 0
		.amdhsa_float_denorm_mode_32 3
		.amdhsa_float_denorm_mode_16_64 3
		.amdhsa_fp16_overflow 0
		.amdhsa_memory_ordered 1
		.amdhsa_forward_progress 1
		.amdhsa_inst_pref_size 10
		.amdhsa_round_robin_scheduling 0
		.amdhsa_exception_fp_ieee_invalid_op 0
		.amdhsa_exception_fp_denorm_src 0
		.amdhsa_exception_fp_ieee_div_zero 0
		.amdhsa_exception_fp_ieee_overflow 0
		.amdhsa_exception_fp_ieee_underflow 0
		.amdhsa_exception_fp_ieee_inexact 0
		.amdhsa_exception_int_div_zero 0
	.end_amdhsa_kernel
	.text
.Lfunc_end0:
	.size	_Z19selective_scan_basePKfS0_S0_S0_S0_S0_S0_S0_biiiiPfS1_, .Lfunc_end0-_Z19selective_scan_basePKfS0_S0_S0_S0_S0_S0_S0_biiiiPfS1_
                                        ; -- End function
	.set _Z19selective_scan_basePKfS0_S0_S0_S0_S0_S0_S0_biiiiPfS1_.num_vgpr, 24
	.set _Z19selective_scan_basePKfS0_S0_S0_S0_S0_S0_S0_biiiiPfS1_.num_agpr, 0
	.set _Z19selective_scan_basePKfS0_S0_S0_S0_S0_S0_S0_biiiiPfS1_.numbered_sgpr, 30
	.set _Z19selective_scan_basePKfS0_S0_S0_S0_S0_S0_S0_biiiiPfS1_.num_named_barrier, 0
	.set _Z19selective_scan_basePKfS0_S0_S0_S0_S0_S0_S0_biiiiPfS1_.private_seg_size, 0
	.set _Z19selective_scan_basePKfS0_S0_S0_S0_S0_S0_S0_biiiiPfS1_.uses_vcc, 1
	.set _Z19selective_scan_basePKfS0_S0_S0_S0_S0_S0_S0_biiiiPfS1_.uses_flat_scratch, 0
	.set _Z19selective_scan_basePKfS0_S0_S0_S0_S0_S0_S0_biiiiPfS1_.has_dyn_sized_stack, 0
	.set _Z19selective_scan_basePKfS0_S0_S0_S0_S0_S0_S0_biiiiPfS1_.has_recursion, 0
	.set _Z19selective_scan_basePKfS0_S0_S0_S0_S0_S0_S0_biiiiPfS1_.has_indirect_call, 0
	.section	.AMDGPU.csdata,"",@progbits
; Kernel info:
; codeLenInByte = 1176
; TotalNumSgprs: 32
; NumVgprs: 24
; ScratchSize: 0
; MemoryBound: 0
; FloatMode: 240
; IeeeMode: 1
; LDSByteSize: 0 bytes/workgroup (compile time only)
; SGPRBlocks: 0
; VGPRBlocks: 1
; NumSGPRsForWavesPerEU: 32
; NumVGPRsForWavesPerEU: 24
; NamedBarCnt: 0
; Occupancy: 16
; WaveLimiterHint : 0
; COMPUTE_PGM_RSRC2:SCRATCH_EN: 0
; COMPUTE_PGM_RSRC2:USER_SGPR: 2
; COMPUTE_PGM_RSRC2:TRAP_HANDLER: 0
; COMPUTE_PGM_RSRC2:TGID_X_EN: 1
; COMPUTE_PGM_RSRC2:TGID_Y_EN: 1
; COMPUTE_PGM_RSRC2:TGID_Z_EN: 0
; COMPUTE_PGM_RSRC2:TIDIG_COMP_CNT: 0
	.section	.text._Z26selective_scan_vllm_kernelI18SSMFwdKernelTraitsILi128ELi4ELi8ELb1ELb1ELb1EEEv13SSMParamsBase,"axG",@progbits,_Z26selective_scan_vllm_kernelI18SSMFwdKernelTraitsILi128ELi4ELi8ELb1ELb1ELb1EEEv13SSMParamsBase,comdat
	.protected	_Z26selective_scan_vllm_kernelI18SSMFwdKernelTraitsILi128ELi4ELi8ELb1ELb1ELb1EEEv13SSMParamsBase ; -- Begin function _Z26selective_scan_vllm_kernelI18SSMFwdKernelTraitsILi128ELi4ELi8ELb1ELb1ELb1EEEv13SSMParamsBase
	.globl	_Z26selective_scan_vllm_kernelI18SSMFwdKernelTraitsILi128ELi4ELi8ELb1ELb1ELb1EEEv13SSMParamsBase
	.p2align	8
	.type	_Z26selective_scan_vllm_kernelI18SSMFwdKernelTraitsILi128ELi4ELi8ELb1ELb1ELb1EEEv13SSMParamsBase,@function
_Z26selective_scan_vllm_kernelI18SSMFwdKernelTraitsILi128ELi4ELi8ELb1ELb1ELb1EEEv13SSMParamsBase: ; @_Z26selective_scan_vllm_kernelI18SSMFwdKernelTraitsILi128ELi4ELi8ELb1ELb1ELb1EEEv13SSMParamsBase
; %bb.0:
	s_clause 0x1
	s_load_b32 s5, s[0:1], 0x4
	s_load_b32 s33, s[0:1], 0x10
	s_bfe_u32 s2, ttmp6, 0x4000c
	s_and_b32 s3, ttmp6, 15
	s_add_co_i32 s2, s2, 1
	s_getreg_b32 s7, hwreg(HW_REG_IB_STS2, 6, 4)
	s_mul_i32 s2, ttmp9, s2
	s_clause 0x1
	s_load_b512 s[12:27], s[0:1], 0x18
	s_load_b256 s[36:43], s[0:1], 0x58
	s_add_co_i32 s3, s3, s2
	s_cmp_eq_u32 s7, 0
	s_clause 0x1
	s_load_b64 s[48:49], s[0:1], 0x88
	s_load_b128 s[28:31], s[0:1], 0x78
	s_cselect_b32 s4, ttmp9, s3
	s_mov_b32 s45, 0
	s_wait_xcnt 0x0
	v_cmp_eq_u32_e64 s1, 0, v0
	s_abs_i32 s44, s4
	s_ashr_i32 s8, s4, 31
	s_wait_kmcnt 0x0
	s_abs_i32 s6, s5
	s_ashr_i32 s9, s5, 31
	s_cvt_f32_u32 s2, s6
	s_sub_co_i32 s3, 0, s6
	s_delay_alu instid0(SALU_CYCLE_2) | instskip(SKIP_1) | instid1(TRANS32_DEP_1)
	v_rcp_iflag_f32_e32 v1, s2
	v_nop
	v_readfirstlane_b32 s2, v1
	s_mul_f32 s0, s2, 0x4f7ffffe
	s_delay_alu instid0(SALU_CYCLE_3) | instskip(SKIP_1) | instid1(SALU_CYCLE_2)
	s_cvt_u32_f32 s2, s0
	v_cmp_ne_u32_e64 s0, 0, v0
	s_mul_i32 s3, s3, s2
	s_delay_alu instid0(SALU_CYCLE_1) | instskip(NEXT) | instid1(SALU_CYCLE_1)
	s_mul_hi_u32 s3, s2, s3
	s_add_co_i32 s2, s2, s3
	s_mov_b32 s3, s45
	s_delay_alu instid0(SALU_CYCLE_1)
	s_mul_u64 s[2:3], s[44:45], s[2:3]
	s_and_saveexec_b32 s2, s1
; %bb.1:
	v_mov_b64_e32 v[2:3], 0x30000007f
	v_mov_b32_e32 v1, 0
	ds_store_b64 v1, v[2:3] offset:36960
; %bb.2:
	s_or_b32 exec_lo, exec_lo, s2
	s_bfe_u32 s2, ttmp6, 0x40010
	s_bfe_u32 s10, ttmp6, 0x40004
	s_add_co_i32 s2, s2, 1
	v_lshlrev_b32_e32 v14, 2, v0
	s_mul_i32 s2, ttmp7, s2
	s_wait_dscnt 0x0
	s_add_co_i32 s10, s10, s2
	s_cmp_eq_u32 s7, 0
	s_mul_i32 s2, s3, s6
	s_cselect_b32 s34, ttmp7, s10
	s_sub_co_i32 s2, s44, s2
	s_xor_b32 s7, s8, s9
	s_add_co_i32 s8, s3, 1
	s_sub_co_i32 s9, s2, s6
	s_cmp_ge_u32 s2, s6
	s_barrier_signal -1
	s_cselect_b32 s3, s8, s3
	s_cselect_b32 s2, s9, s2
	s_add_co_i32 s8, s3, 1
	s_cmp_ge_u32 s2, s6
	s_barrier_wait -1
	s_cselect_b32 s2, s8, s3
	s_lshl_b32 s35, s34, 9
	s_xor_b32 s2, s2, s7
	v_dual_mov_b32 v1, 0 :: v_dual_bitop2_b32 v2, s35, v14 bitop3:0x54
	s_sub_co_i32 s44, s2, s7
	s_delay_alu instid0(SALU_CYCLE_1) | instskip(SKIP_1) | instid1(VALU_DEP_1)
	s_mul_i32 s5, s44, s5
	s_mul_i32 s2, s44, s28
	v_ashrrev_i32_e32 v3, 31, v2
	s_ashr_i32 s3, s2, 31
	s_sub_co_i32 s50, s4, s5
	s_lshl_b64 s[46:47], s[2:3], 2
	s_mul_i32 s2, s50, s29
	v_lshlrev_b64_e32 v[10:11], 2, v[2:3]
	s_ashr_i32 s3, s2, 31
	s_add_nc_u64 s[6:7], s[14:15], s[46:47]
	s_lshl_b64 s[28:29], s[2:3], 2
	s_ashr_i32 s51, s50, 31
	s_add_nc_u64 s[2:3], s[6:7], s[28:29]
	s_lshl_b64 s[52:53], s[50:51], 2
	v_add_nc_u64_e32 v[2:3], s[2:3], v[10:11]
	s_add_nc_u64 s[2:3], s[12:13], s[46:47]
	v_lshl_add_u32 v36, v0, 4, 0
	s_add_nc_u64 s[2:3], s[2:3], s[28:29]
	v_mbcnt_lo_u32_b32 v15, -1, 0
	v_add_nc_u64_e32 v[6:7], s[2:3], v[10:11]
	s_add_nc_u64 s[2:3], s[24:25], s[52:53]
	global_load_b128 v[2:5], v[2:3], off
	s_load_b32 s6, s[2:3], 0x0
	v_dual_lshrrev_b32 v17, 2, v0 :: v_dual_bitop2_b32 v16, 31, v0 bitop3:0x54
	v_dual_lshlrev_b32 v18, 3, v0 :: v_dual_bitop2_b32 v19, 15, v15 bitop3:0x40
	global_load_b128 v[6:9], v[6:7], off
	s_mul_i32 s15, s4, s33
	v_cmp_eq_u32_e64 s4, v0, v16
	v_sub_co_u32 v16, s5, v15, 1
	v_cmp_lt_u32_e64 s8, 3, v19
	v_cmp_lt_u32_e64 s9, 7, v19
	v_dual_sub_nc_u32 v18, 0, v18 :: v_dual_bitop2_b32 v20, 16, v15 bitop3:0x40
	s_delay_alu instid0(VALU_DEP_4)
	v_cmp_gt_i32_e64 s14, 0, v16
	ds_load_b64 v[12:13], v1 offset:36960
	s_lshl_b32 s24, s50, 3
	v_cmp_eq_u32_e64 s10, 0, v20
	s_cmp_lg_u32 s34, 0
	v_cmp_gt_u32_e64 s2, 4, v0
	v_cmp_lt_u32_e64 s3, 31, v0
	v_add_nc_u32_e32 v44, v36, v18
	s_wait_loadcnt 0x1
	s_wait_kmcnt 0x0
	v_pk_add_f32 v[2:3], v[2:3], s[6:7] op_sel_hi:[1,0]
	v_pk_add_f32 v[4:5], v[4:5], s[6:7] op_sel_hi:[1,0]
	v_cmp_eq_u32_e64 s6, 0, v19
	v_cmp_lt_u32_e64 s7, 1, v19
	s_delay_alu instid0(VALU_DEP_3) | instskip(SKIP_1) | instid1(VALU_DEP_2)
	v_dual_mul_f32 v21, 0x3fb8aa3b, v2 :: v_dual_mul_f32 v24, 0x3fb8aa3b, v4
	v_mul_f32_e32 v23, 0x3fb8aa3b, v3
	v_exp_f32_e32 v21, v21
	v_add_nc_u32_e32 v38, 0x828, v36
	s_delay_alu instid0(VALU_DEP_3) | instskip(SKIP_3) | instid1(TRANS32_DEP_2)
	v_exp_f32_e32 v24, v24
	v_and_b32_e32 v22, 3, v15
	v_exp_f32_e32 v23, v23
	v_and_b32_e32 v17, 24, v17
	v_dual_add_f32 v21, 1.0, v21 :: v_dual_add_f32 v24, 1.0, v24
	s_delay_alu instid0(TRANS32_DEP_1) | instskip(NEXT) | instid1(VALU_DEP_2)
	v_add_f32_e32 v23, 1.0, v23
	v_cmp_gt_f32_e32 vcc_lo, 0x800000, v21
	s_delay_alu instid0(VALU_DEP_4) | instskip(NEXT) | instid1(VALU_DEP_4)
	v_add_nc_u32_e32 v40, 0, v17
	v_cmp_gt_f32_e64 s12, 0x800000, v24
	s_delay_alu instid0(VALU_DEP_4) | instskip(SKIP_1) | instid1(VALU_DEP_4)
	v_cmp_gt_f32_e64 s11, 0x800000, v23
	v_cndmask_b32_e64 v26, 0, 32, vcc_lo
	v_add_nc_u32_e32 v42, -8, v40
	s_delay_alu instid0(VALU_DEP_4) | instskip(NEXT) | instid1(VALU_DEP_4)
	v_cndmask_b32_e64 v28, 0, 32, s12
	v_cndmask_b32_e64 v27, 0, 32, s11
	s_delay_alu instid0(VALU_DEP_4) | instskip(NEXT) | instid1(VALU_DEP_2)
	v_ldexp_f32 v19, v21, v26
	v_ldexp_f32 v21, v23, v27
	s_delay_alu instid0(VALU_DEP_2)
	v_log_f32_e32 v19, v19
	v_cndmask_b32_e64 v15, v16, v15, s14
	v_cndmask_b32_e64 v16, 0, 0x41b17218, vcc_lo
	v_mul_f32_e32 v25, 0x3fb8aa3b, v5
	v_ldexp_f32 v23, v24, v28
	v_log_f32_e32 v20, v21
	v_cndmask_b32_e64 v28, 0, 0x41b17218, s11
	v_cmp_gt_f32_e64 vcc_lo, 0x7f800000, |v19|
	v_exp_f32_e32 v25, v25
	v_log_f32_e32 v21, v23
	s_mul_i32 s14, s44, s30
	s_mul_i32 s30, s50, s49
	v_cmp_eq_u32_e64 s11, 0, v22
	s_delay_alu instid0(TRANS32_DEP_2) | instskip(NEXT) | instid1(TRANS32_DEP_1)
	v_add_f32_e32 v25, 1.0, v25
	v_mul_f32_e32 v26, 0x3f317217, v21
	s_delay_alu instid0(VALU_DEP_2) | instskip(NEXT) | instid1(VALU_DEP_2)
	v_cmp_gt_f32_e64 s13, 0x800000, v25
	v_fma_f32 v26, 0x3f317217, v21, -v26
	s_delay_alu instid0(VALU_DEP_2) | instskip(SKIP_1) | instid1(VALU_DEP_2)
	v_cndmask_b32_e64 v29, 0, 32, s13
	v_cndmask_b32_e64 v30, 0, 0x41b17218, s13
	v_ldexp_f32 v24, v25, v29
	v_mul_f32_e32 v25, 0x3f317217, v20
	v_cndmask_b32_e64 v29, 0, 0x41b17218, s12
	s_add_nc_u64 s[12:13], s[22:23], s[52:53]
	s_mul_i32 s23, s44, s48
	v_log_f32_e32 v23, v24
	v_nop
	v_mul_f32_e32 v24, 0x3f317217, v19
	v_fma_f32 v25, 0x3f317217, v20, -v25
	v_fmac_f32_e32 v26, 0x3377d1cf, v21
	s_cselect_b32 s44, -1, 0
	s_ashr_i32 s25, s24, 31
	v_fma_f32 v24, 0x3f317217, v19, -v24
	s_delay_alu instid0(VALU_DEP_2) | instskip(SKIP_2) | instid1(VALU_DEP_3)
	v_dual_mul_f32 v27, 0x3f317217, v23 :: v_dual_fmac_f32 v26, 0x3f317217, v21
	v_fmac_f32_e32 v25, 0x3377d1cf, v20
	s_add_co_i32 s30, s30, s23
	v_fmac_f32_e32 v24, 0x3377d1cf, v19
	s_delay_alu instid0(VALU_DEP_3)
	v_fma_f32 v27, 0x3f317217, v23, -v27
	s_lshl_b64 s[24:25], s[24:25], 2
	v_fmac_f32_e32 v25, 0x3f317217, v20
	s_add_nc_u64 s[16:17], s[16:17], s[24:25]
	v_fmac_f32_e32 v24, 0x3f317217, v19
	v_fmac_f32_e32 v27, 0x3377d1cf, v23
	s_mov_b32 s48, 0
	s_delay_alu instid0(VALU_DEP_2) | instskip(SKIP_2) | instid1(VALU_DEP_3)
	v_cndmask_b32_e32 v19, v19, v24, vcc_lo
	v_cmp_gt_f32_e64 vcc_lo, 0x7f800000, |v20|
	v_add_nc_u32_e32 v37, 0x820, v36
	v_dual_sub_f32 v16, v19, v16 :: v_dual_lshlrev_b32 v41, 2, v15
	v_cndmask_b32_e32 v20, v20, v25, vcc_lo
	v_cmp_gt_f32_e64 vcc_lo, 0x7f800000, |v21|
	v_fmac_f32_e32 v27, 0x3f317217, v23
	v_cndmask_b32_e32 v21, v21, v26, vcc_lo
	v_cmp_gt_f32_e64 vcc_lo, 0x7f800000, |v23|
	s_delay_alu instid0(VALU_DEP_1) | instskip(NEXT) | instid1(VALU_DEP_3)
	v_dual_cndmask_b32 v23, v23, v27, vcc_lo :: v_dual_sub_f32 v17, v20, v28
	v_sub_f32_e32 v19, v21, v29
	v_cmp_lt_f32_e32 vcc_lo, 0x41a00000, v3
	s_delay_alu instid0(VALU_DEP_3) | instskip(NEXT) | instid1(VALU_DEP_4)
	v_dual_sub_f32 v20, v23, v30 :: v_dual_add_nc_u32 v39, 0x1020, v36
	v_cndmask_b32_e32 v3, v17, v3, vcc_lo
	v_cmp_lt_f32_e32 vcc_lo, 0x41a00000, v2
	v_cndmask_b32_e32 v2, v16, v2, vcc_lo
	v_cmp_lt_f32_e32 vcc_lo, 0x41a00000, v5
	v_add3_u32 v16, s14, s35, v14
	s_ashr_i32 s35, s34, 31
	s_lshl_b32 s14, s15, 3
	v_cndmask_b32_e32 v5, v20, v5, vcc_lo
	v_cmp_lt_f32_e32 vcc_lo, 0x41a00000, v4
	v_cndmask_b32_e32 v4, v19, v4, vcc_lo
	s_wait_loadcnt 0x0
	ds_store_2addr_b32 v36, v6, v7 offset0:8 offset1:9
	ds_store_2addr_b32 v37, v2, v3 offset1:1
	ds_store_2addr_b32 v36, v8, v9 offset0:10 offset1:11
	ds_store_2addr_b32 v38, v4, v5 offset1:1
	s_wait_dscnt 0x0
	s_barrier_signal -1
	s_barrier_wait -1
	s_load_b32 s22, s[12:13], 0x0
	ds_load_2addr_b32 v[2:3], v36 offset0:8 offset1:9
	ds_load_2addr_b32 v[4:5], v36 offset0:10 offset1:11
	v_lshlrev_b32_e32 v6, 3, v13
	s_wait_xcnt 0x0
	v_cmp_lt_u32_e64 s12, 1, v22
	v_cmp_eq_u32_e64 s13, v0, v12
	s_delay_alu instid0(VALU_DEP_3)
	v_mov_b32_e32 v43, v6
	s_wait_dscnt 0x1
	s_wait_kmcnt 0x0
	v_pk_mul_f32 v[14:15], s[22:23], v[2:3] op_sel_hi:[0,1]
	s_wait_dscnt 0x0
	v_pk_mul_f32 v[12:13], s[22:23], v[4:5] op_sel_hi:[0,1]
	s_mov_b32 s22, s30
	s_branch .LBB1_4
.LBB1_3:                                ;   in Loop: Header=BB1_4 Depth=1
	s_wait_xcnt 0x0
	s_or_b32 exec_lo, exec_lo, s15
	v_dual_mov_b32 v18, v19 :: v_dual_mov_b32 v24, v2
	v_dual_mov_b32 v25, v4 :: v_dual_mov_b32 v4, v3
	v_dual_mov_b32 v2, v6 :: v_dual_mov_b32 v3, v8
	v_dual_mov_b32 v8, v7 :: v_dual_add_nc_u32 v16, s31, v16
	s_delay_alu instid0(VALU_DEP_3) | instskip(SKIP_2) | instid1(VALU_DEP_2)
	v_pk_fma_f32 v[4:5], v[18:19], v[24:25], v[4:5] op_sel_hi:[0,1,1]
	s_addk_co_i32 s48, 0x800
	s_add_co_i32 s45, s45, 4
	v_pk_fma_f32 v[2:3], v[18:19], v[2:3], v[8:9] op_sel_hi:[0,1,1]
	s_add_co_i32 s22, s22, 1
	s_wait_dscnt 0x1
	v_pk_fma_f32 v[14:15], v[22:23], v[4:5], v[14:15]
	s_add_co_i32 s14, s14, s33
	s_cmp_eq_u32 s48, 0x4000
	s_wait_dscnt 0x0
	v_pk_fma_f32 v[12:13], v[20:21], v[2:3], v[12:13]
	s_add_nc_u64 s[16:17], s[16:17], 4
	s_wait_storecnt 0x0
	s_barrier_signal -1
	s_barrier_wait -1
	s_cbranch_scc1 .LBB1_22
.LBB1_4:                                ; =>This Inner Loop Header: Depth=1
	s_and_saveexec_b32 s49, s1
	s_cbranch_execz .LBB1_9
; %bb.5:                                ;   in Loop: Header=BB1_4 Depth=1
	s_and_b32 vcc_lo, exec_lo, s44
	s_cbranch_vccz .LBB1_21
; %bb.6:                                ;   in Loop: Header=BB1_4 Depth=1
	s_ashr_i32 s15, s14, 31
	s_delay_alu instid0(SALU_CYCLE_1) | instskip(NEXT) | instid1(SALU_CYCLE_1)
	s_add_nc_u64 s[24:25], s[34:35], s[14:15]
	s_lshl_b64 s[24:25], s[24:25], 2
	s_delay_alu instid0(SALU_CYCLE_1)
	s_add_nc_u64 s[50:51], s[40:41], s[24:25]
	s_add_nc_u64 s[24:25], s[42:43], s[24:25]
	global_load_b32 v2, v1, s[50:51] offset:-4
	s_add_nc_u64 s[24:25], s[24:25], -4
	s_cbranch_execnz .LBB1_8
.LBB1_7:                                ;   in Loop: Header=BB1_4 Depth=1
	s_ashr_i32 s23, s22, 31
	s_wait_loadcnt 0x0
	v_mov_b32_e32 v2, 1.0
	s_lshl_b64 s[24:25], s[22:23], 2
	s_delay_alu instid0(SALU_CYCLE_1)
	s_add_nc_u64 s[24:25], s[36:37], s[24:25]
.LBB1_8:                                ;   in Loop: Header=BB1_4 Depth=1
	global_load_b32 v3, v1, s[24:25]
	v_add_nc_u32_e64 v4, 0x9000, s45
	s_wait_loadcnt 0x0
	ds_store_2addr_b32 v4, v2, v3 offset0:8 offset1:16
.LBB1_9:                                ;   in Loop: Header=BB1_4 Depth=1
	s_or_b32 exec_lo, exec_lo, s49
	v_ashrrev_i32_e32 v17, 31, v16
	s_delay_alu instid0(VALU_DEP_1) | instskip(NEXT) | instid1(VALU_DEP_1)
	v_lshlrev_b64_e32 v[2:3], 2, v[16:17]
	v_add_nc_u64_e32 v[18:19], s[18:19], v[2:3]
	v_add_nc_u64_e32 v[20:21], s[20:21], v[2:3]
	global_load_b128 v[2:5], v[18:19], off
	global_load_b128 v[6:9], v[20:21], off
	s_wait_xcnt 0x1
	v_add_nc_u32_e32 v18, s48, v39
	s_delay_alu instid0(VALU_DEP_1)
	v_add_nc_u32_e32 v17, 0x4000, v18
	v_add_nc_u32_e32 v45, 0x4008, v18
	s_wait_loadcnt 0x1
	ds_store_2addr_b32 v18, v2, v3 offset1:1
	s_wait_loadcnt 0x0
	ds_store_2addr_b32 v17, v6, v7 offset1:1
	ds_store_2addr_b32 v18, v4, v5 offset0:2 offset1:3
	ds_store_2addr_b32 v45, v8, v9 offset1:1
	s_wait_dscnt 0x0
	s_barrier_signal -1
	s_barrier_wait -1
	global_load_b32 v24, v1, s[16:17]
	ds_load_2addr_b32 v[2:3], v37 offset1:1
	ds_load_2addr_b32 v[4:5], v18 offset1:1
	ds_load_2addr_b32 v[6:7], v36 offset0:8 offset1:9
	ds_load_2addr_b32 v[8:9], v18 offset0:2 offset1:3
	ds_load_2addr_b32 v[18:19], v38 offset1:1
	ds_load_2addr_b32 v[26:27], v36 offset0:10 offset1:11
	s_wait_dscnt 0x4
	v_dual_mul_f32 v4, v2, v4 :: v_dual_mul_f32 v5, v3, v5
	s_wait_loadcnt 0x0
	v_dual_mul_f32 v21, v2, v24 :: v_dual_mul_f32 v20, v3, v24
	s_wait_dscnt 0x3
	s_delay_alu instid0(VALU_DEP_2) | instskip(SKIP_1) | instid1(VALU_DEP_2)
	v_mul_f32_e32 v3, v6, v4
	s_wait_dscnt 0x1
	v_dual_mul_f32 v6, v18, v24 :: v_dual_mul_f32 v21, 0x3fb8aa3b, v21
	v_mul_f32_e32 v20, 0x3fb8aa3b, v20
	s_delay_alu instid0(VALU_DEP_2) | instskip(NEXT) | instid1(VALU_DEP_1)
	v_exp_f32_e32 v2, v21
	v_exp_f32_e32 v20, v20
	s_wait_dscnt 0x0
	v_dual_mul_f32 v21, v7, v5 :: v_dual_mov_b32 v7, v26
	s_delay_alu instid0(TRANS32_DEP_1) | instskip(NEXT) | instid1(VALU_DEP_1)
	v_dual_mov_b32 v4, v2 :: v_dual_mul_f32 v5, v3, v20
	v_pk_add_f32 v[22:23], v[4:5], v[20:21]
	v_mul_f32_e32 v29, v18, v8
	v_mul_f32_e32 v8, v19, v24
	;; [unrolled: 1-line block ×3, first 2 shown]
	v_pk_mul_f32 v[4:5], v[4:5], v[20:21]
	s_delay_alu instid0(VALU_DEP_3) | instskip(NEXT) | instid1(VALU_DEP_3)
	v_mul_f32_e32 v18, 0x3fb8aa3b, v8
	v_exp_f32_e32 v28, v6
	v_nop
	v_mov_b32_e32 v6, v23
	s_delay_alu instid0(TRANS32_DEP_1) | instid1(VALU_DEP_1)
	v_pk_mul_f32 v[30:31], v[6:7], v[28:29]
	s_delay_alu instid0(VALU_DEP_1) | instskip(NEXT) | instid1(VALU_DEP_1)
	v_mov_b32_e32 v8, v31
	v_pk_fma_f32 v[24:25], v[6:7], v[28:29], v[8:9]
	s_delay_alu instid0(VALU_DEP_1) | instskip(SKIP_2) | instid1(TRANS32_DEP_1)
	v_dual_mul_f32 v6, v19, v9 :: v_dual_mov_b32 v5, v24
	v_exp_f32_e32 v26, v18
	v_nop
	v_dual_mul_f32 v27, v27, v6 :: v_dual_mov_b32 v29, v26
	s_delay_alu instid0(VALU_DEP_1) | instskip(NEXT) | instid1(VALU_DEP_2)
	v_pk_mul_f32 v[6:7], v[4:5], v[28:29]
	v_pk_fma_f32 v[32:33], v[4:5], v[28:29], v[26:27]
	s_delay_alu instid0(VALU_DEP_2) | instskip(NEXT) | instid1(VALU_DEP_2)
	v_pk_mul_f32 v[8:9], v[6:7], v[26:27]
	v_mov_b32_dpp v5, v33 row_shr:1 row_mask:0xf bank_mask:0xf
	s_delay_alu instid0(VALU_DEP_2) | instskip(NEXT) | instid1(VALU_DEP_1)
	v_mov_b32_dpp v7, v8 row_shr:1 row_mask:0xf bank_mask:0xf
	v_dual_fma_f32 v5, v8, v5, v33 :: v_dual_mul_f32 v7, v8, v7
	s_delay_alu instid0(VALU_DEP_1) | instskip(NEXT) | instid1(VALU_DEP_1)
	v_dual_cndmask_b32 v5, v5, v33, s6 :: v_dual_cndmask_b32 v7, v7, v8, s6
	v_mov_b32_dpp v9, v5 row_shr:2 row_mask:0xf bank_mask:0xf
	s_delay_alu instid0(VALU_DEP_2) | instskip(NEXT) | instid1(VALU_DEP_1)
	v_mov_b32_dpp v18, v7 row_shr:2 row_mask:0xf bank_mask:0xf
	v_dual_fma_f32 v9, v7, v9, v5 :: v_dual_mul_f32 v18, v7, v18
	s_delay_alu instid0(VALU_DEP_1) | instskip(NEXT) | instid1(VALU_DEP_1)
	v_dual_cndmask_b32 v5, v5, v9, s7 :: v_dual_cndmask_b32 v7, v7, v18, s7
	;; [unrolled: 6-line block ×3, first 2 shown]
	v_mov_b32_dpp v9, v5 row_shr:8 row_mask:0xf bank_mask:0xf
	s_delay_alu instid0(VALU_DEP_2) | instskip(NEXT) | instid1(VALU_DEP_1)
	v_mov_b32_dpp v18, v7 row_shr:8 row_mask:0xf bank_mask:0xf
	v_dual_fma_f32 v9, v7, v9, v5 :: v_dual_mul_f32 v18, v7, v18
	s_delay_alu instid0(VALU_DEP_1)
	v_dual_cndmask_b32 v9, v5, v9, s9 :: v_dual_cndmask_b32 v22, v7, v18, s9
	ds_swizzle_b32 v5, v9 offset:swizzle(BROADCAST,32,15)
	v_add_nc_u32_e64 v18, 0x9000, s45
	ds_swizzle_b32 v7, v22 offset:swizzle(BROADCAST,32,15)
	ds_load_2addr_b32 v[18:19], v18 offset0:8 offset1:16
	s_wait_dscnt 0x1
	v_dual_fma_f32 v25, v22, v5, v9 :: v_dual_mul_f32 v29, v22, v7
	s_delay_alu instid0(VALU_DEP_1) | instskip(NEXT) | instid1(VALU_DEP_2)
	v_cndmask_b32_e64 v5, v25, v9, s10
	v_cndmask_b32_e64 v7, v29, v22, s10
	s_and_saveexec_b32 s15, s4
; %bb.10:                               ;   in Loop: Header=BB1_4 Depth=1
	v_cndmask_b32_e64 v9, v25, v9, s10
	v_cndmask_b32_e64 v22, v29, v22, s10
	ds_store_2addr_b32 v40, v22, v9 offset1:1
; %bb.11:                               ;   in Loop: Header=BB1_4 Depth=1
	s_or_b32 exec_lo, exec_lo, s15
	s_wait_dscnt 0x0
	s_barrier_signal -1
	s_barrier_wait -1
	s_and_saveexec_b32 s15, s2
	s_cbranch_execz .LBB1_13
; %bb.12:                               ;   in Loop: Header=BB1_4 Depth=1
	ds_load_2addr_b32 v[34:35], v44 offset1:1
	s_wait_dscnt 0x0
	v_mov_b32_dpp v9, v34 row_shr:1 row_mask:0xf bank_mask:0xf
	v_mov_b32_dpp v22, v35 row_shr:1 row_mask:0xf bank_mask:0xf
	s_delay_alu instid0(VALU_DEP_1) | instskip(NEXT) | instid1(VALU_DEP_1)
	v_dual_mul_f32 v9, v34, v9 :: v_dual_fma_f32 v22, v34, v22, v35
	v_dual_cndmask_b32 v9, v9, v34, s11 :: v_dual_cndmask_b32 v22, v22, v35, s11
	s_delay_alu instid0(VALU_DEP_1) | instskip(NEXT) | instid1(VALU_DEP_2)
	v_mov_b32_dpp v25, v9 row_shr:2 row_mask:0xf bank_mask:0xf
	v_mov_b32_dpp v29, v22 row_shr:2 row_mask:0xf bank_mask:0xf
	s_delay_alu instid0(VALU_DEP_2) | instskip(NEXT) | instid1(VALU_DEP_2)
	v_mul_f32_e32 v25, v9, v25
	v_fma_f32 v29, v9, v29, v22
	s_delay_alu instid0(VALU_DEP_2) | instskip(NEXT) | instid1(VALU_DEP_2)
	v_cndmask_b32_e64 v9, v9, v25, s12
	v_cndmask_b32_e64 v22, v22, v29, s12
	ds_store_2addr_b32 v44, v9, v22 offset1:1
.LBB1_13:                               ;   in Loop: Header=BB1_4 Depth=1
	s_or_b32 exec_lo, exec_lo, s15
	s_wait_dscnt 0x0
	s_barrier_signal -1
	s_barrier_wait -1
                                        ; implicit-def: $vgpr34
	s_and_saveexec_b32 s15, s3
	s_cbranch_execz .LBB1_15
; %bb.14:                               ;   in Loop: Header=BB1_4 Depth=1
	ds_load_2addr_b32 v[34:35], v42 offset1:1
	s_wait_dscnt 0x0
	v_dual_mul_f32 v9, v7, v34 :: v_dual_fmac_f32 v5, v7, v35
	s_delay_alu instid0(VALU_DEP_1)
	v_mov_b32_e32 v7, v9
.LBB1_15:                               ;   in Loop: Header=BB1_4 Depth=1
	s_or_b32 exec_lo, exec_lo, s15
	ds_bpermute_b32 v7, v41, v7
	ds_bpermute_b32 v5, v41, v5
	s_and_saveexec_b32 s15, s0
	s_delay_alu instid0(SALU_CYCLE_1)
	s_xor_b32 s15, exec_lo, s15
	s_cbranch_execz .LBB1_17
; %bb.16:                               ;   in Loop: Header=BB1_4 Depth=1
	s_wait_dscnt 0x0
	v_dual_cndmask_b32 v4, v5, v35, s5 :: v_dual_mov_b32 v6, v20
	;;#ASMSTART
	;;#ASMEND
                                        ; implicit-def: $vgpr32_vgpr33
                                        ; implicit-def: $vgpr24_vgpr25
	s_delay_alu instid0(VALU_DEP_1) | instskip(NEXT) | instid1(VALU_DEP_1)
	v_dual_fmac_f32 v3, v2, v4 :: v_dual_cndmask_b32 v4, v7, v34, s5
	v_dual_mov_b32 v7, v28 :: v_dual_fmac_f32 v21, v3, v20
	s_delay_alu instid0(VALU_DEP_1) | instskip(NEXT) | instid1(VALU_DEP_1)
	v_dual_mul_f32 v22, v2, v4 :: v_dual_mov_b32 v23, v21
	v_pk_fma_f32 v[6:7], v[22:23], v[6:7], v[30:31]
	v_dual_mul_f32 v4, v22, v20 :: v_dual_mov_b32 v23, v3
	s_delay_alu instid0(VALU_DEP_1) | instskip(SKIP_1) | instid1(VALU_DEP_3)
	v_dual_fmac_f32 v27, v7, v26 :: v_dual_mul_f32 v6, v4, v28
	v_mov_b32_e32 v5, v21
	v_mov_b64_e32 v[2:3], v[22:23]
                                        ; implicit-def: $vgpr22_vgpr23
	s_delay_alu instid0(VALU_DEP_3)
	v_dual_mov_b32 v9, v27 :: v_dual_mul_f32 v8, v6, v26
.LBB1_17:                               ;   in Loop: Header=BB1_4 Depth=1
	s_and_not1_saveexec_b32 s15, s15
	s_cbranch_execz .LBB1_19
; %bb.18:                               ;   in Loop: Header=BB1_4 Depth=1
	s_wait_dscnt 0x0
	v_dual_mov_b32 v9, v33 :: v_dual_mov_b32 v5, v23
	v_mov_b32_e32 v7, v24
.LBB1_19:                               ;   in Loop: Header=BB1_4 Depth=1
	s_or_b32 exec_lo, exec_lo, s15
	s_wait_dscnt 0x0
	s_clause 0x1
	scratch_store_b128 off, v[2:5], off
	scratch_store_b128 off, v[6:9], off offset:16
	s_wait_storecnt 0x0
	s_barrier_signal -1
	s_barrier_wait -1
	ds_load_2addr_b32 v[22:23], v17 offset1:1
	ds_load_2addr_b32 v[20:21], v45 offset1:1
	s_wait_xcnt 0x0
	s_and_saveexec_b32 s15, s13
	s_cbranch_execz .LBB1_3
; %bb.20:                               ;   in Loop: Header=BB1_4 Depth=1
	scratch_load_b64 v[24:25], v43, off
	s_add_co_i32 s23, s34, s14
	s_wait_loadcnt 0x0
	v_dual_mov_b32 v17, s23 :: v_dual_mul_f32 v18, v18, v24
	v_fmac_f32_e32 v25, v19, v24
	v_add_nc_u32_e64 v24, 0x9000, s45
	s_clause 0x1
	global_store_b32 v17, v18, s[40:41] scale_offset
	global_store_b32 v17, v25, s[42:43] scale_offset
	ds_store_2addr_b32 v24, v18, v25 offset0:8 offset1:16
	s_branch .LBB1_3
.LBB1_21:                               ;   in Loop: Header=BB1_4 Depth=1
                                        ; implicit-def: $sgpr24_sgpr25
                                        ; implicit-def: $vgpr2
	s_branch .LBB1_7
.LBB1_22:
	s_add_nc_u64 s[0:1], s[26:27], s[46:47]
	s_add_co_i32 s33, s33, -1
	s_add_nc_u64 s[0:1], s[0:1], s[28:29]
	s_cmp_eq_u32 s34, s33
	v_add_nc_u64_e32 v[2:3], s[0:1], v[10:11]
	s_add_nc_u64 s[0:1], s[38:39], s[46:47]
	s_delay_alu instid0(SALU_CYCLE_1) | instskip(SKIP_3) | instid1(VALU_DEP_1)
	s_add_nc_u64 s[0:1], s[0:1], s[28:29]
	global_load_b32 v1, v[2:3], off
	s_wait_loadcnt 0x0
	v_mul_f32_e32 v4, 0xbfb8aa3b, v1
	v_exp_f32_e32 v4, v4
	v_nop
	s_delay_alu instid0(TRANS32_DEP_1) | instskip(NEXT) | instid1(VALU_DEP_1)
	v_add_f32_e32 v4, 1.0, v4
	v_div_scale_f32 v5, null, v4, v4, v1
	s_delay_alu instid0(VALU_DEP_1) | instskip(SKIP_1) | instid1(TRANS32_DEP_1)
	v_rcp_f32_e32 v6, v5
	v_nop
	v_fma_f32 v7, -v5, v6, 1.0
	s_delay_alu instid0(VALU_DEP_1) | instskip(SKIP_1) | instid1(VALU_DEP_1)
	v_fmac_f32_e32 v6, v7, v6
	v_div_scale_f32 v8, vcc_lo, v1, v4, v1
	v_mul_f32_e32 v7, v8, v6
	s_delay_alu instid0(VALU_DEP_1) | instskip(NEXT) | instid1(VALU_DEP_1)
	v_fma_f32 v9, -v5, v7, v8
	v_fmac_f32_e32 v7, v9, v6
	s_delay_alu instid0(VALU_DEP_1) | instskip(NEXT) | instid1(VALU_DEP_1)
	v_fma_f32 v5, -v5, v7, v8
	v_div_fmas_f32 v5, v5, v6, v7
	s_delay_alu instid0(VALU_DEP_1) | instskip(SKIP_2) | instid1(VALU_DEP_2)
	v_div_fixup_f32 v1, v5, v4, v1
	v_add_nc_u64_e32 v[4:5], s[0:1], v[10:11]
	s_cselect_b32 s0, -1, 0
	v_mul_f32_e32 v1, v14, v1
	global_store_b32 v[4:5], v1, off
	global_load_b32 v1, v[2:3], off offset:4
	s_wait_loadcnt 0x0
	v_mul_f32_e32 v6, 0xbfb8aa3b, v1
	s_delay_alu instid0(VALU_DEP_1) | instskip(SKIP_1) | instid1(TRANS32_DEP_1)
	v_exp_f32_e32 v6, v6
	v_nop
	v_add_f32_e32 v6, 1.0, v6
	s_delay_alu instid0(VALU_DEP_1) | instskip(NEXT) | instid1(VALU_DEP_1)
	v_div_scale_f32 v7, null, v6, v6, v1
	v_rcp_f32_e32 v8, v7
	v_nop
	s_delay_alu instid0(TRANS32_DEP_1) | instskip(NEXT) | instid1(VALU_DEP_1)
	v_fma_f32 v9, -v7, v8, 1.0
	v_fmac_f32_e32 v8, v9, v8
	v_div_scale_f32 v10, vcc_lo, v1, v6, v1
	s_delay_alu instid0(VALU_DEP_1) | instskip(NEXT) | instid1(VALU_DEP_1)
	v_mul_f32_e32 v9, v10, v8
	v_fma_f32 v11, -v7, v9, v10
	s_delay_alu instid0(VALU_DEP_1) | instskip(NEXT) | instid1(VALU_DEP_1)
	v_fmac_f32_e32 v9, v11, v8
	v_fma_f32 v7, -v7, v9, v10
	s_delay_alu instid0(VALU_DEP_1) | instskip(NEXT) | instid1(VALU_DEP_1)
	v_div_fmas_f32 v7, v7, v8, v9
	v_div_fixup_f32 v1, v7, v6, v1
	s_delay_alu instid0(VALU_DEP_1) | instskip(SKIP_4) | instid1(VALU_DEP_1)
	v_mul_f32_e32 v1, v15, v1
	global_store_b32 v[4:5], v1, off offset:4
	global_load_b32 v1, v[2:3], off offset:8
	s_wait_loadcnt 0x0
	v_mul_f32_e32 v6, 0xbfb8aa3b, v1
	v_exp_f32_e32 v6, v6
	v_nop
	s_delay_alu instid0(TRANS32_DEP_1) | instskip(NEXT) | instid1(VALU_DEP_1)
	v_add_f32_e32 v6, 1.0, v6
	v_div_scale_f32 v7, null, v6, v6, v1
	v_div_scale_f32 v10, vcc_lo, v1, v6, v1
	s_delay_alu instid0(VALU_DEP_2) | instskip(SKIP_1) | instid1(TRANS32_DEP_1)
	v_rcp_f32_e32 v8, v7
	v_nop
	v_fma_f32 v9, -v7, v8, 1.0
	s_delay_alu instid0(VALU_DEP_1) | instskip(NEXT) | instid1(VALU_DEP_1)
	v_fmac_f32_e32 v8, v9, v8
	v_mul_f32_e32 v9, v10, v8
	s_delay_alu instid0(VALU_DEP_1) | instskip(NEXT) | instid1(VALU_DEP_1)
	v_fma_f32 v11, -v7, v9, v10
	v_fmac_f32_e32 v9, v11, v8
	s_delay_alu instid0(VALU_DEP_1) | instskip(NEXT) | instid1(VALU_DEP_1)
	v_fma_f32 v7, -v7, v9, v10
	v_div_fmas_f32 v7, v7, v8, v9
	s_delay_alu instid0(VALU_DEP_1) | instskip(NEXT) | instid1(VALU_DEP_1)
	v_div_fixup_f32 v1, v7, v6, v1
	v_mul_f32_e32 v1, v12, v1
	global_store_b32 v[4:5], v1, off offset:8
	global_load_b32 v1, v[2:3], off offset:12
	s_wait_loadcnt 0x0
	v_mul_f32_e32 v2, 0xbfb8aa3b, v1
	s_delay_alu instid0(VALU_DEP_1) | instskip(SKIP_1) | instid1(TRANS32_DEP_1)
	v_exp_f32_e32 v2, v2
	v_nop
	v_add_f32_e32 v2, 1.0, v2
	s_delay_alu instid0(VALU_DEP_1) | instskip(SKIP_1) | instid1(VALU_DEP_2)
	v_div_scale_f32 v3, null, v2, v2, v1
	v_div_scale_f32 v8, vcc_lo, v1, v2, v1
	v_rcp_f32_e32 v6, v3
	v_nop
	s_delay_alu instid0(TRANS32_DEP_1) | instskip(NEXT) | instid1(VALU_DEP_1)
	v_fma_f32 v7, -v3, v6, 1.0
	v_fmac_f32_e32 v6, v7, v6
	s_delay_alu instid0(VALU_DEP_1) | instskip(NEXT) | instid1(VALU_DEP_1)
	v_mul_f32_e32 v7, v8, v6
	v_fma_f32 v9, -v3, v7, v8
	s_delay_alu instid0(VALU_DEP_1) | instskip(NEXT) | instid1(VALU_DEP_1)
	v_fmac_f32_e32 v7, v9, v6
	v_fma_f32 v3, -v3, v7, v8
	s_delay_alu instid0(VALU_DEP_1) | instskip(SKIP_1) | instid1(VALU_DEP_2)
	v_div_fmas_f32 v3, v3, v6, v7
	v_cmp_gt_u32_e32 vcc_lo, 8, v0
	v_div_fixup_f32 v1, v3, v2, v1
	s_and_b32 s0, s0, vcc_lo
	s_delay_alu instid0(VALU_DEP_1)
	v_mul_f32_e32 v1, v13, v1
	global_store_b32 v[4:5], v1, off offset:12
	s_wait_xcnt 0x0
	s_and_saveexec_b32 s1, s0
	s_cbranch_execz .LBB1_24
; %bb.23:
	v_lshl_add_u32 v1, v0, 2, 0
	v_add_nc_u32_e32 v0, s30, v0
	ds_load_b32 v1, v1 offset:36928
	s_wait_dscnt 0x0
	global_store_b32 v0, v1, s[36:37] scale_offset
.LBB1_24:
	s_endpgm
	.section	.rodata,"a",@progbits
	.p2align	6, 0x0
	.amdhsa_kernel _Z26selective_scan_vllm_kernelI18SSMFwdKernelTraitsILi128ELi4ELi8ELb1ELb1ELb1EEEv13SSMParamsBase
		.amdhsa_group_segment_fixed_size 0
		.amdhsa_private_segment_fixed_size 48
		.amdhsa_kernarg_size 144
		.amdhsa_user_sgpr_count 2
		.amdhsa_user_sgpr_dispatch_ptr 0
		.amdhsa_user_sgpr_queue_ptr 0
		.amdhsa_user_sgpr_kernarg_segment_ptr 1
		.amdhsa_user_sgpr_dispatch_id 0
		.amdhsa_user_sgpr_kernarg_preload_length 0
		.amdhsa_user_sgpr_kernarg_preload_offset 0
		.amdhsa_user_sgpr_private_segment_size 0
		.amdhsa_wavefront_size32 1
		.amdhsa_uses_dynamic_stack 0
		.amdhsa_enable_private_segment 1
		.amdhsa_system_sgpr_workgroup_id_x 1
		.amdhsa_system_sgpr_workgroup_id_y 1
		.amdhsa_system_sgpr_workgroup_id_z 0
		.amdhsa_system_sgpr_workgroup_info 0
		.amdhsa_system_vgpr_workitem_id 0
		.amdhsa_next_free_vgpr 46
		.amdhsa_next_free_sgpr 54
		.amdhsa_named_barrier_count 0
		.amdhsa_reserve_vcc 1
		.amdhsa_float_round_mode_32 0
		.amdhsa_float_round_mode_16_64 0
		.amdhsa_float_denorm_mode_32 3
		.amdhsa_float_denorm_mode_16_64 3
		.amdhsa_fp16_overflow 0
		.amdhsa_memory_ordered 1
		.amdhsa_forward_progress 1
		.amdhsa_inst_pref_size 30
		.amdhsa_round_robin_scheduling 0
		.amdhsa_exception_fp_ieee_invalid_op 0
		.amdhsa_exception_fp_denorm_src 0
		.amdhsa_exception_fp_ieee_div_zero 0
		.amdhsa_exception_fp_ieee_overflow 0
		.amdhsa_exception_fp_ieee_underflow 0
		.amdhsa_exception_fp_ieee_inexact 0
		.amdhsa_exception_int_div_zero 0
	.end_amdhsa_kernel
	.section	.text._Z26selective_scan_vllm_kernelI18SSMFwdKernelTraitsILi128ELi4ELi8ELb1ELb1ELb1EEEv13SSMParamsBase,"axG",@progbits,_Z26selective_scan_vllm_kernelI18SSMFwdKernelTraitsILi128ELi4ELi8ELb1ELb1ELb1EEEv13SSMParamsBase,comdat
.Lfunc_end1:
	.size	_Z26selective_scan_vllm_kernelI18SSMFwdKernelTraitsILi128ELi4ELi8ELb1ELb1ELb1EEEv13SSMParamsBase, .Lfunc_end1-_Z26selective_scan_vllm_kernelI18SSMFwdKernelTraitsILi128ELi4ELi8ELb1ELb1ELb1EEEv13SSMParamsBase
                                        ; -- End function
	.set _Z26selective_scan_vllm_kernelI18SSMFwdKernelTraitsILi128ELi4ELi8ELb1ELb1ELb1EEEv13SSMParamsBase.num_vgpr, 46
	.set _Z26selective_scan_vllm_kernelI18SSMFwdKernelTraitsILi128ELi4ELi8ELb1ELb1ELb1EEEv13SSMParamsBase.num_agpr, 0
	.set _Z26selective_scan_vllm_kernelI18SSMFwdKernelTraitsILi128ELi4ELi8ELb1ELb1ELb1EEEv13SSMParamsBase.numbered_sgpr, 54
	.set _Z26selective_scan_vllm_kernelI18SSMFwdKernelTraitsILi128ELi4ELi8ELb1ELb1ELb1EEEv13SSMParamsBase.num_named_barrier, 0
	.set _Z26selective_scan_vllm_kernelI18SSMFwdKernelTraitsILi128ELi4ELi8ELb1ELb1ELb1EEEv13SSMParamsBase.private_seg_size, 48
	.set _Z26selective_scan_vllm_kernelI18SSMFwdKernelTraitsILi128ELi4ELi8ELb1ELb1ELb1EEEv13SSMParamsBase.uses_vcc, 1
	.set _Z26selective_scan_vllm_kernelI18SSMFwdKernelTraitsILi128ELi4ELi8ELb1ELb1ELb1EEEv13SSMParamsBase.uses_flat_scratch, 1
	.set _Z26selective_scan_vllm_kernelI18SSMFwdKernelTraitsILi128ELi4ELi8ELb1ELb1ELb1EEEv13SSMParamsBase.has_dyn_sized_stack, 0
	.set _Z26selective_scan_vllm_kernelI18SSMFwdKernelTraitsILi128ELi4ELi8ELb1ELb1ELb1EEEv13SSMParamsBase.has_recursion, 0
	.set _Z26selective_scan_vllm_kernelI18SSMFwdKernelTraitsILi128ELi4ELi8ELb1ELb1ELb1EEEv13SSMParamsBase.has_indirect_call, 0
	.section	.AMDGPU.csdata,"",@progbits
; Kernel info:
; codeLenInByte = 3720
; TotalNumSgprs: 56
; NumVgprs: 46
; ScratchSize: 48
; MemoryBound: 0
; FloatMode: 240
; IeeeMode: 1
; LDSByteSize: 0 bytes/workgroup (compile time only)
; SGPRBlocks: 0
; VGPRBlocks: 2
; NumSGPRsForWavesPerEU: 56
; NumVGPRsForWavesPerEU: 46
; NamedBarCnt: 0
; Occupancy: 16
; WaveLimiterHint : 0
; COMPUTE_PGM_RSRC2:SCRATCH_EN: 1
; COMPUTE_PGM_RSRC2:USER_SGPR: 2
; COMPUTE_PGM_RSRC2:TRAP_HANDLER: 0
; COMPUTE_PGM_RSRC2:TGID_X_EN: 1
; COMPUTE_PGM_RSRC2:TGID_Y_EN: 1
; COMPUTE_PGM_RSRC2:TGID_Z_EN: 0
; COMPUTE_PGM_RSRC2:TIDIG_COMP_CNT: 0
	.section	.text._Z26selective_scan_vllm_kernelI18SSMFwdKernelTraitsILi128ELi4ELi8ELb1ELb1ELb0EEEv13SSMParamsBase,"axG",@progbits,_Z26selective_scan_vllm_kernelI18SSMFwdKernelTraitsILi128ELi4ELi8ELb1ELb1ELb0EEEv13SSMParamsBase,comdat
	.protected	_Z26selective_scan_vllm_kernelI18SSMFwdKernelTraitsILi128ELi4ELi8ELb1ELb1ELb0EEEv13SSMParamsBase ; -- Begin function _Z26selective_scan_vllm_kernelI18SSMFwdKernelTraitsILi128ELi4ELi8ELb1ELb1ELb0EEEv13SSMParamsBase
	.globl	_Z26selective_scan_vllm_kernelI18SSMFwdKernelTraitsILi128ELi4ELi8ELb1ELb1ELb0EEEv13SSMParamsBase
	.p2align	8
	.type	_Z26selective_scan_vllm_kernelI18SSMFwdKernelTraitsILi128ELi4ELi8ELb1ELb1ELb0EEEv13SSMParamsBase,@function
_Z26selective_scan_vllm_kernelI18SSMFwdKernelTraitsILi128ELi4ELi8ELb1ELb1ELb0EEEv13SSMParamsBase: ; @_Z26selective_scan_vllm_kernelI18SSMFwdKernelTraitsILi128ELi4ELi8ELb1ELb1ELb0EEEv13SSMParamsBase
; %bb.0:
	s_load_b64 s[8:9], s[0:1], 0x4
	s_bfe_u32 s3, ttmp6, 0x4000c
	s_bfe_u32 s4, ttmp6, 0x40010
	s_add_co_i32 s3, s3, 1
	s_add_co_i32 s4, s4, 1
	s_and_b32 s2, ttmp6, 15
	s_bfe_u32 s5, ttmp6, 0x40004
	s_mul_i32 s3, ttmp9, s3
	s_mul_i32 s4, ttmp7, s4
	s_getreg_b32 s6, hwreg(HW_REG_IB_STS2, 6, 4)
	s_add_co_i32 s2, s2, s3
	s_add_co_i32 s5, s5, s4
	s_cmp_eq_u32 s6, 0
	s_load_b512 s[16:31], s[0:1], 0x18
	s_cselect_b32 s33, ttmp9, s2
	s_cselect_b32 s34, ttmp7, s5
	s_clause 0x1
	s_load_b64 s[10:11], s[0:1], 0x88
	s_load_b128 s[44:47], s[0:1], 0x78
	s_mov_b32 s7, 0
	v_cmp_eq_u32_e64 s3, 0, v0
	s_mov_b32 s5, s7
	s_wait_kmcnt 0x0
	s_abs_i32 s12, s8
	s_ashr_i32 s13, s33, 31
	s_cvt_f32_u32 s2, s12
	s_sub_co_i32 s6, 0, s12
	s_delay_alu instid0(SALU_CYCLE_2) | instskip(SKIP_1) | instid1(TRANS32_DEP_1)
	v_rcp_iflag_f32_e32 v1, s2
	v_nop
	v_readfirstlane_b32 s2, v1
	s_mul_f32 s2, s2, 0x4f7ffffe
	s_delay_alu instid0(SALU_CYCLE_3) | instskip(SKIP_1) | instid1(SALU_CYCLE_2)
	s_cvt_u32_f32 s4, s2
	v_cmp_ne_u32_e64 s2, 0, v0
	s_mul_i32 s6, s6, s4
	s_delay_alu instid0(SALU_CYCLE_1)
	s_mul_hi_u32 s14, s4, s6
	s_abs_i32 s6, s33
	s_add_co_i32 s4, s4, s14
	s_ashr_i32 s14, s8, 31
	s_mul_u64 s[4:5], s[6:7], s[4:5]
	s_lshl_b32 s4, s34, 9
	s_and_saveexec_b32 s7, s3
	s_cbranch_execz .LBB2_2
; %bb.1:
	s_add_co_i32 s15, s4, 0x200
	s_not_b32 s35, s4
	s_min_i32 s15, s15, s9
	v_mov_b32_e32 v1, 0
	s_add_co_i32 s15, s15, s35
	s_delay_alu instid0(SALU_CYCLE_1) | instskip(NEXT) | instid1(SALU_CYCLE_1)
	s_ashr_i32 s35, s15, 31
	s_lshr_b32 s35, s35, 30
	s_delay_alu instid0(SALU_CYCLE_1) | instskip(NEXT) | instid1(SALU_CYCLE_1)
	s_add_co_i32 s35, s15, s35
	s_and_b32 s36, s35, -4
	s_ashr_i32 s35, s35, 2
	s_sub_co_i32 s15, s15, s36
	s_delay_alu instid0(SALU_CYCLE_1)
	v_dual_mov_b32 v2, s35 :: v_dual_mov_b32 v3, s15
	ds_store_b64 v1, v[2:3] offset:36960
.LBB2_2:
	s_or_b32 exec_lo, exec_lo, s7
	s_mul_i32 s7, s5, s12
	s_xor_b32 s13, s13, s14
	s_sub_co_i32 s6, s6, s7
	s_add_co_i32 s7, s5, 1
	s_sub_co_i32 s14, s6, s12
	s_cmp_ge_u32 s6, s12
	v_dual_mov_b32 v5, 0 :: v_dual_lshlrev_b32 v1, 2, v0
	s_cselect_b32 s5, s7, s5
	s_cselect_b32 s6, s14, s6
	s_add_co_i32 s7, s5, 1
	s_wait_dscnt 0x0
	s_cmp_ge_u32 s6, s12
	s_barrier_signal -1
	s_barrier_wait -1
	ds_load_b64 v[2:3], v5 offset:36960
	s_cselect_b32 s5, s7, s5
	v_dual_add_nc_u32 v10, s4, v1 :: v_dual_mov_b32 v4, 0
	s_xor_b32 s5, s5, s13
	s_delay_alu instid0(SALU_CYCLE_1) | instskip(NEXT) | instid1(VALU_DEP_1)
	s_sub_co_i32 s35, s5, s13
	v_cmp_gt_i32_e64 s4, s9, v10
	s_mul_i32 s5, s35, s8
	s_mul_i32 s6, s35, s44
	s_sub_co_i32 s12, s33, s5
	s_ashr_i32 s7, s6, 31
	s_ashr_i32 s13, s12, 31
	s_lshl_b64 s[48:49], s[6:7], 2
	s_mul_i32 s6, s12, s45
	v_cmp_le_i32_e64 s5, s9, v10
	s_ashr_i32 s7, s6, 31
	s_add_nc_u64 s[16:17], s[16:17], s[48:49]
	s_lshl_b64 s[44:45], s[6:7], 2
	s_lshl_b64 s[14:15], s[12:13], 2
	s_add_nc_u64 s[36:37], s[16:17], s[44:45]
	s_add_nc_u64 s[6:7], s[28:29], s[14:15]
	s_and_saveexec_b32 s8, s4
	s_cbranch_execz .LBB2_4
; %bb.3:
	global_load_b32 v4, v10, s[36:37] scale_offset
.LBB2_4:
	s_wait_xcnt 0x0
	s_or_b32 exec_lo, exec_lo, s8
	s_load_b32 s13, s[6:7], 0x0
	s_wait_xcnt 0x0
	s_add_nc_u64 s[6:7], s[18:19], s[48:49]
	s_delay_alu instid0(SALU_CYCLE_1)
	s_add_nc_u64 s[16:17], s[6:7], s[44:45]
	s_and_saveexec_b32 s6, s4
	s_cbranch_execz .LBB2_6
; %bb.5:
	global_load_b32 v5, v10, s[16:17] scale_offset
.LBB2_6:
	s_wait_xcnt 0x0
	s_or_b32 exec_lo, exec_lo, s6
	s_wait_loadcnt 0x0
	s_wait_kmcnt 0x0
	v_add_f32_e32 v5, s13, v5
	v_lshl_add_u32 v1, v1, 2, 0
	s_delay_alu instid0(VALU_DEP_2) | instskip(NEXT) | instid1(VALU_DEP_2)
	v_mul_f32_e32 v6, 0x3fb8aa3b, v5
	v_add_nc_u32_e32 v9, 32, v1
	s_delay_alu instid0(VALU_DEP_2) | instskip(SKIP_1) | instid1(TRANS32_DEP_1)
	v_exp_f32_e32 v6, v6
	v_nop
	v_add_f32_e32 v6, 1.0, v6
	s_delay_alu instid0(VALU_DEP_1) | instskip(SKIP_2) | instid1(VALU_DEP_2)
	v_cmp_gt_f32_e32 vcc_lo, 0x800000, v6
	v_cndmask_b32_e64 v7, 0, 32, vcc_lo
	v_cndmask_b32_e64 v8, 0, 0x41b17218, vcc_lo
	v_ldexp_f32 v6, v6, v7
	s_delay_alu instid0(VALU_DEP_1) | instskip(SKIP_1) | instid1(TRANS32_DEP_1)
	v_log_f32_e32 v6, v6
	v_nop
	v_mul_f32_e32 v7, 0x3f317217, v6
	v_cmp_gt_f32_e64 vcc_lo, 0x7f800000, |v6|
	s_delay_alu instid0(VALU_DEP_2) | instskip(NEXT) | instid1(VALU_DEP_1)
	v_fma_f32 v7, 0x3f317217, v6, -v7
	v_fmamk_f32 v7, v6, 0x3377d1cf, v7
	s_delay_alu instid0(VALU_DEP_1) | instskip(NEXT) | instid1(VALU_DEP_1)
	v_fmac_f32_e32 v7, 0x3f317217, v6
	v_cndmask_b32_e32 v6, v6, v7, vcc_lo
	v_cmp_lt_f32_e32 vcc_lo, 0x41a00000, v5
	s_delay_alu instid0(VALU_DEP_2) | instskip(NEXT) | instid1(VALU_DEP_1)
	v_dual_sub_f32 v7, v6, v8 :: v_dual_bitop2_b32 v8, 1, v10 bitop3:0x54
	v_dual_mov_b32 v6, 0 :: v_dual_cndmask_b32 v7, v7, v5
	s_delay_alu instid0(VALU_DEP_2)
	v_cmp_gt_i32_e64 s6, s9, v8
	v_mov_b32_e32 v5, 0
	ds_store_2addr_stride64_b32 v9, v4, v7 offset1:8
	s_and_saveexec_b32 s7, s6
	s_cbranch_execz .LBB2_8
; %bb.7:
	global_load_b32 v5, v10, s[36:37] offset:4 scale_offset
.LBB2_8:
	s_wait_xcnt 0x0
	s_or_b32 exec_lo, exec_lo, s7
	s_and_saveexec_b32 s7, s6
	s_cbranch_execz .LBB2_10
; %bb.9:
	global_load_b32 v6, v10, s[16:17] offset:4 scale_offset
.LBB2_10:
	s_wait_xcnt 0x0
	s_or_b32 exec_lo, exec_lo, s7
	s_wait_loadcnt 0x0
	v_dual_add_f32 v6, s13, v6 :: v_dual_add_nc_u32 v9, 36, v1
	s_delay_alu instid0(VALU_DEP_1) | instskip(NEXT) | instid1(VALU_DEP_1)
	v_mul_f32_e32 v4, 0x3fb8aa3b, v6
	v_exp_f32_e32 v4, v4
	v_nop
	s_delay_alu instid0(TRANS32_DEP_1) | instskip(NEXT) | instid1(VALU_DEP_1)
	v_add_f32_e32 v4, 1.0, v4
	v_cmp_gt_f32_e32 vcc_lo, 0x800000, v4
	v_cndmask_b32_e64 v7, 0, 32, vcc_lo
	v_cndmask_b32_e64 v8, 0, 0x41b17218, vcc_lo
	s_delay_alu instid0(VALU_DEP_2) | instskip(NEXT) | instid1(VALU_DEP_1)
	v_ldexp_f32 v4, v4, v7
	v_log_f32_e32 v4, v4
	v_nop
	s_delay_alu instid0(TRANS32_DEP_1) | instskip(SKIP_1) | instid1(VALU_DEP_2)
	v_mul_f32_e32 v7, 0x3f317217, v4
	v_cmp_gt_f32_e64 vcc_lo, 0x7f800000, |v4|
	v_fma_f32 v7, 0x3f317217, v4, -v7
	s_delay_alu instid0(VALU_DEP_1) | instskip(NEXT) | instid1(VALU_DEP_1)
	v_fmamk_f32 v7, v4, 0x3377d1cf, v7
	v_fmac_f32_e32 v7, 0x3f317217, v4
	s_delay_alu instid0(VALU_DEP_1) | instskip(SKIP_1) | instid1(VALU_DEP_2)
	v_cndmask_b32_e32 v4, v4, v7, vcc_lo
	v_cmp_lt_f32_e32 vcc_lo, 0x41a00000, v6
	v_dual_sub_f32 v7, v4, v8 :: v_dual_bitop2_b32 v8, 2, v10 bitop3:0x54
	s_delay_alu instid0(VALU_DEP_1) | instskip(NEXT) | instid1(VALU_DEP_2)
	v_dual_mov_b32 v4, 0 :: v_dual_cndmask_b32 v7, v7, v6
	v_cmp_gt_i32_e64 s7, s9, v8
	v_mov_b32_e32 v6, 0
	ds_store_2addr_stride64_b32 v9, v5, v7 offset1:8
	s_and_saveexec_b32 s8, s7
	s_cbranch_execz .LBB2_12
; %bb.11:
	global_load_b32 v6, v10, s[36:37] offset:8 scale_offset
.LBB2_12:
	s_wait_xcnt 0x0
	s_or_b32 exec_lo, exec_lo, s8
	s_and_saveexec_b32 s8, s7
	s_cbranch_execz .LBB2_14
; %bb.13:
	global_load_b32 v4, v10, s[16:17] offset:8 scale_offset
.LBB2_14:
	s_wait_xcnt 0x0
	s_or_b32 exec_lo, exec_lo, s8
	s_wait_loadcnt 0x0
	v_dual_add_f32 v5, s13, v4 :: v_dual_add_nc_u32 v9, 40, v1
	s_delay_alu instid0(VALU_DEP_1) | instskip(NEXT) | instid1(VALU_DEP_1)
	v_mul_f32_e32 v4, 0x3fb8aa3b, v5
	v_exp_f32_e32 v4, v4
	v_nop
	s_delay_alu instid0(TRANS32_DEP_1) | instskip(NEXT) | instid1(VALU_DEP_1)
	v_add_f32_e32 v4, 1.0, v4
	v_cmp_gt_f32_e32 vcc_lo, 0x800000, v4
	v_cndmask_b32_e64 v7, 0, 32, vcc_lo
	v_cndmask_b32_e64 v8, 0, 0x41b17218, vcc_lo
	s_delay_alu instid0(VALU_DEP_2) | instskip(NEXT) | instid1(VALU_DEP_1)
	v_ldexp_f32 v4, v4, v7
	v_log_f32_e32 v4, v4
	v_nop
	s_delay_alu instid0(TRANS32_DEP_1) | instskip(SKIP_1) | instid1(VALU_DEP_2)
	v_mul_f32_e32 v7, 0x3f317217, v4
	v_cmp_gt_f32_e64 vcc_lo, 0x7f800000, |v4|
	v_fma_f32 v7, 0x3f317217, v4, -v7
	s_delay_alu instid0(VALU_DEP_1) | instskip(NEXT) | instid1(VALU_DEP_1)
	v_fmamk_f32 v7, v4, 0x3377d1cf, v7
	v_fmac_f32_e32 v7, 0x3f317217, v4
	s_delay_alu instid0(VALU_DEP_1) | instskip(SKIP_1) | instid1(VALU_DEP_2)
	v_cndmask_b32_e32 v4, v4, v7, vcc_lo
	v_cmp_lt_f32_e32 vcc_lo, 0x41a00000, v5
	v_dual_sub_f32 v7, v4, v8 :: v_dual_bitop2_b32 v8, 3, v10 bitop3:0x54
	s_delay_alu instid0(VALU_DEP_1) | instskip(NEXT) | instid1(VALU_DEP_2)
	v_dual_mov_b32 v4, 0 :: v_dual_cndmask_b32 v5, v7, v5
	v_cmp_gt_i32_e64 s8, s9, v8
	v_cmp_le_i32_e32 vcc_lo, s9, v8
	ds_store_2addr_stride64_b32 v9, v6, v5 offset1:8
	s_and_saveexec_b32 s9, s8
	s_cbranch_execz .LBB2_16
; %bb.15:
	global_load_b32 v4, v10, s[36:37] offset:12 scale_offset
.LBB2_16:
	s_wait_xcnt 0x0
	s_or_b32 exec_lo, exec_lo, s9
	v_ashrrev_i32_e32 v11, 31, v10
	s_and_saveexec_b32 s9, vcc_lo
	s_delay_alu instid0(SALU_CYCLE_1) | instskip(NEXT) | instid1(SALU_CYCLE_1)
	s_xor_b32 s9, exec_lo, s9
	s_or_saveexec_b32 s9, s9
	s_clause 0x1
	s_load_b32 s19, s[0:1], 0x10
	s_load_b256 s[36:43], s[0:1], 0x58
	v_dual_mov_b32 v34, 0 :: v_dual_mov_b32 v5, 0
	s_xor_b32 exec_lo, exec_lo, s9
	s_cbranch_execz .LBB2_18
; %bb.17:
	global_load_b32 v5, v10, s[16:17] offset:12 scale_offset
.LBB2_18:
	s_wait_xcnt 0x0
	s_or_b32 exec_lo, exec_lo, s9
	s_wait_loadcnt 0x0
	v_dual_add_f32 v5, s13, v5 :: v_dual_bitop2_b32 v12, 31, v0 bitop3:0x54
	v_lshlrev_b32_e32 v14, 3, v0
	s_lshl_b32 s16, s12, 3
	s_add_nc_u64 s[14:15], s[26:27], s[14:15]
	s_delay_alu instid0(VALU_DEP_2) | instskip(SKIP_3) | instid1(VALU_DEP_1)
	v_dual_mul_f32 v6, 0x3fb8aa3b, v5 :: v_dual_lshrrev_b32 v13, 2, v0
	s_mul_i32 s26, s35, s46
	s_mul_i32 s35, s35, s10
	s_mul_i32 s10, s12, s11
	v_exp_f32_e32 v6, v6
	s_cmp_lg_u32 s34, 0
	s_wait_dscnt 0x3
	v_cmp_eq_u32_e64 s9, v0, v2
	s_wait_kmcnt 0x0
	s_mul_i32 s27, s33, s19
	s_cselect_b32 s46, -1, 0
	s_add_co_i32 s33, s10, s35
	v_cmp_eq_u32_e64 s10, v0, v12
	v_dual_add_f32 v6, 1.0, v6 :: v_dual_bitop2_b32 v12, 24, v13 bitop3:0x40
	v_mbcnt_lo_u32_b32 v9, -1, 0
	s_ashr_i32 s17, s16, 31
	v_cmp_gt_u32_e64 s0, 4, v0
	s_delay_alu instid0(VALU_DEP_3)
	v_cmp_gt_f32_e32 vcc_lo, 0x800000, v6
	v_cmp_lt_u32_e64 s1, 31, v0
	v_lshl_add_u32 v35, v0, 4, 0x1020
	s_lshl_b64 s[50:51], s[16:17], 2
	s_mov_b32 s54, 0
	v_cndmask_b32_e64 v7, 0, 32, vcc_lo
	v_cndmask_b32_e64 v2, 0, 0x41b17218, vcc_lo
	s_ashr_i32 s35, s34, 31
	s_add_nc_u64 s[20:21], s[20:21], s[50:51]
	s_mov_b32 s50, s33
	v_ldexp_f32 v6, v6, v7
	v_dual_lshlrev_b32 v15, 3, v3 :: v_dual_add_nc_u32 v39, 0, v12
	v_and_b32_e32 v13, 3, v9
	v_add_nc_u32_e32 v36, 0x820, v1
	s_delay_alu instid0(VALU_DEP_4) | instskip(NEXT) | instid1(VALU_DEP_3)
	v_log_f32_e32 v6, v6
	v_dual_mov_b32 v38, v15 :: v_dual_add_nc_u32 v7, 44, v1
	v_add_nc_u32_e32 v41, -8, v39
	v_cmp_eq_u32_e64 s17, 0, v13
	v_cmp_lt_u32_e64 s18, 1, v13
	v_sub_nc_u32_e32 v16, 0, v14
	s_delay_alu instid0(TRANS32_DEP_1) | instskip(SKIP_1) | instid1(VALU_DEP_3)
	v_mul_f32_e32 v8, 0x3f317217, v6
	v_cmp_gt_f32_e64 vcc_lo, 0x7f800000, |v6|
	v_add_nc_u32_e32 v42, v1, v16
	s_delay_alu instid0(VALU_DEP_3) | instskip(NEXT) | instid1(VALU_DEP_1)
	v_fma_f32 v8, 0x3f317217, v6, -v8
	v_fmamk_f32 v8, v6, 0x3377d1cf, v8
	s_delay_alu instid0(VALU_DEP_1) | instskip(NEXT) | instid1(VALU_DEP_1)
	v_fmac_f32_e32 v8, 0x3f317217, v6
	v_cndmask_b32_e32 v3, v6, v8, vcc_lo
	v_add_nc_u32_e32 v37, 0x828, v1
	v_cmp_lt_f32_e32 vcc_lo, 0x41a00000, v5
	s_delay_alu instid0(VALU_DEP_3) | instskip(NEXT) | instid1(VALU_DEP_1)
	v_dual_sub_f32 v2, v3, v2 :: v_dual_bitop2_b32 v6, 15, v9 bitop3:0x40
	v_cmp_eq_u32_e64 s12, 0, v6
	v_cmp_lt_u32_e64 s13, 1, v6
	s_delay_alu instid0(VALU_DEP_3)
	v_cndmask_b32_e32 v2, v2, v5, vcc_lo
	ds_store_2addr_stride64_b32 v7, v4, v2 offset1:8
	s_wait_dscnt 0x0
	s_barrier_signal -1
	s_barrier_wait -1
	s_load_b32 s28, s[14:15], 0x0
	ds_load_2addr_b32 v[2:3], v1 offset0:8 offset1:9
	ds_load_2addr_b32 v[4:5], v1 offset0:10 offset1:11
	v_sub_co_u32 v7, s11, v9, 1
	s_wait_xcnt 0x0
	v_cmp_lt_u32_e64 s14, 3, v6
	v_cmp_lt_u32_e64 s15, 7, v6
	s_delay_alu instid0(VALU_DEP_3) | instskip(SKIP_1) | instid1(VALU_DEP_1)
	v_cmp_gt_i32_e32 vcc_lo, 0, v7
	v_dual_cndmask_b32 v6, v7, v9, vcc_lo :: v_dual_bitop2_b32 v8, 16, v9 bitop3:0x40
	v_cmp_eq_u32_e64 s16, 0, v8
	s_delay_alu instid0(VALU_DEP_2)
	v_lshlrev_b32_e32 v40, 2, v6
	s_wait_dscnt 0x1
	s_wait_kmcnt 0x0
	v_pk_mul_f32 v[14:15], s[28:29], v[2:3] op_sel_hi:[0,1]
	s_wait_dscnt 0x0
	v_pk_mul_f32 v[12:13], s[28:29], v[4:5] op_sel_hi:[0,1]
	s_lshl_b32 s28, s27, 3
	s_branch .LBB2_20
.LBB2_19:                               ;   in Loop: Header=BB2_20 Depth=1
	s_wait_xcnt 0x0
	s_or_b32 exec_lo, exec_lo, s29
	v_dual_mov_b32 v16, v17 :: v_dual_mov_b32 v22, v2
	v_dual_mov_b32 v23, v4 :: v_dual_mov_b32 v4, v3
	v_dual_mov_b32 v2, v6 :: v_dual_mov_b32 v3, v8
	v_dual_mov_b32 v8, v7 :: v_dual_add_nc_u32 v35, 0x800, v35
	s_delay_alu instid0(VALU_DEP_3) | instskip(SKIP_2) | instid1(VALU_DEP_2)
	v_pk_fma_f32 v[4:5], v[16:17], v[22:23], v[4:5] op_sel_hi:[0,1,1]
	s_add_co_i32 s54, s54, 4
	s_add_co_i32 s26, s26, s47
	v_pk_fma_f32 v[2:3], v[16:17], v[2:3], v[8:9] op_sel_hi:[0,1,1]
	s_add_co_i32 s50, s50, 1
	s_wait_dscnt 0x1
	v_pk_fma_f32 v[14:15], v[20:21], v[4:5], v[14:15]
	s_add_co_i32 s28, s28, s19
	s_cmp_eq_u32 s54, 32
	s_wait_dscnt 0x0
	v_pk_fma_f32 v[12:13], v[18:19], v[2:3], v[12:13]
	s_add_nc_u64 s[20:21], s[20:21], 4
	s_wait_storecnt 0x0
	s_barrier_signal -1
	s_barrier_wait -1
	s_cbranch_scc1 .LBB2_54
.LBB2_20:                               ; =>This Inner Loop Header: Depth=1
	s_and_saveexec_b32 s27, s3
	s_cbranch_execz .LBB2_25
; %bb.21:                               ;   in Loop: Header=BB2_20 Depth=1
	s_and_b32 vcc_lo, exec_lo, s46
	s_cbranch_vccz .LBB2_53
; %bb.22:                               ;   in Loop: Header=BB2_20 Depth=1
	s_ashr_i32 s29, s28, 31
	s_delay_alu instid0(SALU_CYCLE_1) | instskip(NEXT) | instid1(SALU_CYCLE_1)
	s_add_nc_u64 s[52:53], s[34:35], s[28:29]
	s_lshl_b64 s[52:53], s[52:53], 2
	s_delay_alu instid0(SALU_CYCLE_1)
	s_add_nc_u64 s[56:57], s[40:41], s[52:53]
	s_add_nc_u64 s[52:53], s[42:43], s[52:53]
	global_load_b32 v2, v34, s[56:57] offset:-4
	s_add_nc_u64 s[52:53], s[52:53], -4
	s_cbranch_execnz .LBB2_24
.LBB2_23:                               ;   in Loop: Header=BB2_20 Depth=1
	s_ashr_i32 s51, s50, 31
	s_wait_loadcnt 0x0
	v_mov_b32_e32 v2, 1.0
	s_lshl_b64 s[52:53], s[50:51], 2
	s_delay_alu instid0(SALU_CYCLE_1)
	s_add_nc_u64 s[52:53], s[36:37], s[52:53]
.LBB2_24:                               ;   in Loop: Header=BB2_20 Depth=1
	global_load_b32 v3, v34, s[52:53]
	s_add_co_i32 s29, s54, 0
	s_delay_alu instid0(SALU_CYCLE_1)
	v_add_nc_u32_e64 v4, 0x9000, s29
	s_wait_loadcnt 0x0
	ds_store_2addr_b32 v4, v2, v3 offset0:8 offset1:16
.LBB2_25:                               ;   in Loop: Header=BB2_20 Depth=1
	s_or_b32 exec_lo, exec_lo, s27
	v_add_nc_u32_e32 v43, 0, v35
	s_and_saveexec_b32 s27, s5
	s_delay_alu instid0(SALU_CYCLE_1)
	s_xor_b32 s27, exec_lo, s27
; %bb.26:                               ;   in Loop: Header=BB2_20 Depth=1
	ds_store_b32 v43, v34
; %bb.27:                               ;   in Loop: Header=BB2_20 Depth=1
	s_or_saveexec_b32 s27, s27
	v_dual_mov_b32 v3, 0 :: v_dual_mov_b32 v2, 0
	s_xor_b32 exec_lo, exec_lo, s27
	s_cbranch_execz .LBB2_29
; %bb.28:                               ;   in Loop: Header=BB2_20 Depth=1
	v_add_nc_u32_e32 v4, s26, v10
	s_clause 0x1
	global_load_b32 v5, v4, s[22:23] scale_offset
	global_load_b32 v2, v4, s[24:25] scale_offset
	s_wait_loadcnt 0x1
	ds_store_b32 v43, v5
.LBB2_29:                               ;   in Loop: Header=BB2_20 Depth=1
	s_wait_xcnt 0x0
	s_or_b32 exec_lo, exec_lo, s27
	s_wait_loadcnt 0x0
	ds_store_b32 v43, v2 offset:16384
	s_and_saveexec_b32 s29, s6
	s_cbranch_execz .LBB2_31
; %bb.30:                               ;   in Loop: Header=BB2_20 Depth=1
	s_ashr_i32 s27, s26, 31
	s_delay_alu instid0(SALU_CYCLE_1) | instskip(NEXT) | instid1(VALU_DEP_1)
	v_add_nc_u64_e32 v[2:3], s[26:27], v[10:11]
	v_lshl_add_u64 v[2:3], v[2:3], 2, s[22:23]
	global_load_b32 v3, v[2:3], off offset:4
.LBB2_31:                               ;   in Loop: Header=BB2_20 Depth=1
	s_wait_xcnt 0x0
	s_or_b32 exec_lo, exec_lo, s29
	v_dual_mov_b32 v2, 0 :: v_dual_mov_b32 v4, 0
	s_wait_loadcnt 0x0
	ds_store_b32 v43, v3 offset:4
	s_and_saveexec_b32 s29, s6
	s_cbranch_execz .LBB2_33
; %bb.32:                               ;   in Loop: Header=BB2_20 Depth=1
	s_ashr_i32 s27, s26, 31
	s_delay_alu instid0(SALU_CYCLE_1) | instskip(NEXT) | instid1(VALU_DEP_1)
	v_add_nc_u64_e32 v[4:5], s[26:27], v[10:11]
	v_lshl_add_u64 v[4:5], v[4:5], 2, s[24:25]
	global_load_b32 v4, v[4:5], off offset:4
.LBB2_33:                               ;   in Loop: Header=BB2_20 Depth=1
	s_wait_xcnt 0x0
	s_or_b32 exec_lo, exec_lo, s29
	s_wait_loadcnt 0x0
	ds_store_b32 v43, v4 offset:16388
	s_and_saveexec_b32 s29, s7
	s_cbranch_execz .LBB2_35
; %bb.34:                               ;   in Loop: Header=BB2_20 Depth=1
	s_ashr_i32 s27, s26, 31
	s_delay_alu instid0(SALU_CYCLE_1) | instskip(NEXT) | instid1(VALU_DEP_1)
	v_add_nc_u64_e32 v[2:3], s[26:27], v[10:11]
	v_lshl_add_u64 v[2:3], v[2:3], 2, s[22:23]
	global_load_b32 v2, v[2:3], off offset:8
.LBB2_35:                               ;   in Loop: Header=BB2_20 Depth=1
	s_wait_xcnt 0x0
	s_or_b32 exec_lo, exec_lo, s29
	v_dual_mov_b32 v3, 0 :: v_dual_mov_b32 v4, 0
	s_wait_loadcnt 0x0
	ds_store_b32 v43, v2 offset:8
	s_and_saveexec_b32 s29, s7
	s_cbranch_execz .LBB2_37
; %bb.36:                               ;   in Loop: Header=BB2_20 Depth=1
	s_ashr_i32 s27, s26, 31
	s_delay_alu instid0(SALU_CYCLE_1) | instskip(NEXT) | instid1(VALU_DEP_1)
	v_add_nc_u64_e32 v[4:5], s[26:27], v[10:11]
	v_lshl_add_u64 v[4:5], v[4:5], 2, s[24:25]
	global_load_b32 v4, v[4:5], off offset:8
.LBB2_37:                               ;   in Loop: Header=BB2_20 Depth=1
	s_wait_xcnt 0x0
	s_or_b32 exec_lo, exec_lo, s29
	s_wait_loadcnt 0x0
	ds_store_b32 v43, v4 offset:16392
	s_and_saveexec_b32 s29, s8
	s_cbranch_execz .LBB2_39
; %bb.38:                               ;   in Loop: Header=BB2_20 Depth=1
	s_ashr_i32 s27, s26, 31
	s_delay_alu instid0(SALU_CYCLE_1) | instskip(NEXT) | instid1(VALU_DEP_1)
	v_add_nc_u64_e32 v[2:3], s[26:27], v[10:11]
	v_lshl_add_u64 v[2:3], v[2:3], 2, s[22:23]
	global_load_b32 v3, v[2:3], off offset:12
.LBB2_39:                               ;   in Loop: Header=BB2_20 Depth=1
	s_wait_xcnt 0x0
	s_or_b32 exec_lo, exec_lo, s29
	v_mov_b32_e32 v2, 0
	s_wait_loadcnt 0x0
	ds_store_b32 v43, v3 offset:12
	s_and_saveexec_b32 s29, s8
	s_cbranch_execz .LBB2_41
; %bb.40:                               ;   in Loop: Header=BB2_20 Depth=1
	s_ashr_i32 s27, s26, 31
	s_delay_alu instid0(SALU_CYCLE_1) | instskip(NEXT) | instid1(VALU_DEP_1)
	v_add_nc_u64_e32 v[2:3], s[26:27], v[10:11]
	v_lshl_add_u64 v[2:3], v[2:3], 2, s[24:25]
	global_load_b32 v2, v[2:3], off offset:12
.LBB2_41:                               ;   in Loop: Header=BB2_20 Depth=1
	s_wait_xcnt 0x0
	s_or_b32 exec_lo, exec_lo, s29
	s_wait_loadcnt 0x0
	ds_store_b32 v43, v2 offset:16396
	s_wait_dscnt 0x0
	s_barrier_signal -1
	s_barrier_wait -1
	global_load_b32 v22, v34, s[20:21]
	ds_load_2addr_b32 v[2:3], v36 offset1:1
	ds_load_2addr_b32 v[4:5], v43 offset1:1
	ds_load_2addr_b32 v[6:7], v1 offset0:8 offset1:9
	ds_load_2addr_b32 v[8:9], v43 offset0:2 offset1:3
	ds_load_2addr_b32 v[16:17], v37 offset1:1
	ds_load_2addr_b32 v[24:25], v1 offset0:10 offset1:11
	s_add_co_i32 s27, s54, 0
	s_wait_loadcnt_dscnt 0x1
	v_dual_mul_f32 v27, v16, v8 :: v_dual_mul_f32 v18, v3, v22
	v_dual_mul_f32 v19, v2, v22 :: v_dual_mul_f32 v2, v2, v4
	;; [unrolled: 1-line block ×3, first 2 shown]
	s_delay_alu instid0(VALU_DEP_3) | instskip(SKIP_1) | instid1(VALU_DEP_4)
	v_mul_f32_e32 v18, 0x3fb8aa3b, v18
	v_add_nc_u32_e64 v16, 0x9000, s27
	v_mul_f32_e32 v44, v6, v2
	v_mul_f32_e32 v6, v17, v22
	s_delay_alu instid0(VALU_DEP_4) | instskip(SKIP_1) | instid1(TRANS32_DEP_1)
	v_exp_f32_e32 v18, v18
	v_mul_f32_e32 v4, 0x3fb8aa3b, v19
	v_dual_mul_f32 v19, v7, v3 :: v_dual_mul_f32 v3, v44, v18
	s_delay_alu instid0(VALU_DEP_2) | instskip(SKIP_2) | instid1(VALU_DEP_1)
	v_exp_f32_e32 v2, v4
	v_nop
	v_mul_f32_e32 v4, 0x3fb8aa3b, v5
	v_exp_f32_e32 v26, v4
	s_delay_alu instid0(TRANS32_DEP_2) | instskip(SKIP_1) | instid1(VALU_DEP_1)
	v_pk_add_f32 v[20:21], v[2:3], v[18:19]
	s_wait_dscnt 0x0
	v_dual_mov_b32 v5, v24 :: v_dual_mov_b32 v4, v21
	s_delay_alu instid0(TRANS32_DEP_1) | instid1(VALU_DEP_1)
	v_pk_mul_f32 v[28:29], v[4:5], v[26:27]
	s_delay_alu instid0(VALU_DEP_1) | instskip(NEXT) | instid1(VALU_DEP_1)
	v_dual_mul_f32 v7, 0x3fb8aa3b, v6 :: v_dual_mov_b32 v6, v29
	v_exp_f32_e32 v24, v7
	s_delay_alu instid0(VALU_DEP_1) | instskip(SKIP_2) | instid1(TRANS32_DEP_1)
	v_pk_fma_f32 v[22:23], v[4:5], v[26:27], v[6:7]
	v_mul_f32_e32 v6, v17, v9
	v_pk_mul_f32 v[4:5], v[2:3], v[18:19]
	v_mov_b32_e32 v27, v24
	ds_load_2addr_b32 v[16:17], v16 offset0:8 offset1:16
	v_dual_mov_b32 v5, v22 :: v_dual_mul_f32 v25, v25, v6
	s_delay_alu instid0(VALU_DEP_1) | instskip(NEXT) | instid1(VALU_DEP_2)
	v_pk_mul_f32 v[6:7], v[4:5], v[26:27]
	v_pk_fma_f32 v[30:31], v[4:5], v[26:27], v[24:25]
	s_delay_alu instid0(VALU_DEP_2) | instskip(NEXT) | instid1(VALU_DEP_2)
	v_pk_mul_f32 v[8:9], v[6:7], v[24:25]
	v_mov_b32_dpp v3, v31 row_shr:1 row_mask:0xf bank_mask:0xf
	s_delay_alu instid0(VALU_DEP_2) | instskip(NEXT) | instid1(VALU_DEP_1)
	v_mov_b32_dpp v5, v8 row_shr:1 row_mask:0xf bank_mask:0xf
	v_dual_fma_f32 v3, v8, v3, v31 :: v_dual_mul_f32 v5, v8, v5
	s_delay_alu instid0(VALU_DEP_1) | instskip(NEXT) | instid1(VALU_DEP_1)
	v_dual_cndmask_b32 v3, v3, v31, s12 :: v_dual_cndmask_b32 v5, v5, v8, s12
	v_mov_b32_dpp v7, v3 row_shr:2 row_mask:0xf bank_mask:0xf
	s_delay_alu instid0(VALU_DEP_1) | instskip(NEXT) | instid1(VALU_DEP_1)
	v_fma_f32 v7, v5, v7, v3
	v_cndmask_b32_e64 v3, v3, v7, s13
	v_mov_b32_dpp v9, v5 row_shr:2 row_mask:0xf bank_mask:0xf
	s_delay_alu instid0(VALU_DEP_1) | instskip(NEXT) | instid1(VALU_DEP_3)
	v_mul_f32_e32 v9, v5, v9
	v_mov_b32_dpp v7, v3 row_shr:4 row_mask:0xf bank_mask:0xf
	s_delay_alu instid0(VALU_DEP_2) | instskip(NEXT) | instid1(VALU_DEP_1)
	v_cndmask_b32_e64 v5, v5, v9, s13
	v_fma_f32 v7, v5, v7, v3
	s_delay_alu instid0(VALU_DEP_1) | instskip(SKIP_1) | instid1(VALU_DEP_1)
	v_cndmask_b32_e64 v3, v3, v7, s14
	v_mov_b32_dpp v9, v5 row_shr:4 row_mask:0xf bank_mask:0xf
	v_mul_f32_e32 v9, v5, v9
	s_delay_alu instid0(VALU_DEP_3) | instskip(NEXT) | instid1(VALU_DEP_2)
	v_mov_b32_dpp v7, v3 row_shr:8 row_mask:0xf bank_mask:0xf
	v_cndmask_b32_e64 v5, v5, v9, s14
	s_delay_alu instid0(VALU_DEP_1) | instskip(NEXT) | instid1(VALU_DEP_1)
	v_fma_f32 v7, v5, v7, v3
	v_cndmask_b32_e64 v7, v3, v7, s15
	v_mov_b32_dpp v9, v5 row_shr:8 row_mask:0xf bank_mask:0xf
	ds_swizzle_b32 v3, v7 offset:swizzle(BROADCAST,32,15)
	v_mul_f32_e32 v9, v5, v9
	s_delay_alu instid0(VALU_DEP_1) | instskip(SKIP_1) | instid1(VALU_DEP_1)
	v_cndmask_b32_e64 v9, v5, v9, s15
	s_wait_dscnt 0x0
	v_fma_f32 v20, v9, v3, v7
	s_delay_alu instid0(VALU_DEP_1) | instskip(SKIP_3) | instid1(VALU_DEP_1)
	v_cndmask_b32_e64 v3, v20, v7, s16
	ds_swizzle_b32 v5, v9 offset:swizzle(BROADCAST,32,15)
	s_wait_dscnt 0x0
	v_mul_f32_e32 v23, v9, v5
	v_cndmask_b32_e64 v5, v23, v9, s16
	s_and_saveexec_b32 s29, s10
; %bb.42:                               ;   in Loop: Header=BB2_20 Depth=1
	v_dual_cndmask_b32 v7, v20, v7, s16 :: v_dual_cndmask_b32 v9, v23, v9, s16
	ds_store_2addr_b32 v39, v9, v7 offset1:1
; %bb.43:                               ;   in Loop: Header=BB2_20 Depth=1
	s_or_b32 exec_lo, exec_lo, s29
	s_wait_dscnt 0x0
	s_barrier_signal -1
	s_barrier_wait -1
	s_and_saveexec_b32 s29, s0
	s_cbranch_execz .LBB2_45
; %bb.44:                               ;   in Loop: Header=BB2_20 Depth=1
	ds_load_2addr_b32 v[32:33], v42 offset1:1
	s_wait_dscnt 0x0
	v_mov_b32_dpp v7, v32 row_shr:1 row_mask:0xf bank_mask:0xf
	v_mov_b32_dpp v9, v33 row_shr:1 row_mask:0xf bank_mask:0xf
	s_delay_alu instid0(VALU_DEP_1) | instskip(NEXT) | instid1(VALU_DEP_1)
	v_dual_mul_f32 v7, v32, v7 :: v_dual_fma_f32 v9, v32, v9, v33
	v_dual_cndmask_b32 v7, v7, v32, s17 :: v_dual_cndmask_b32 v9, v9, v33, s17
	s_delay_alu instid0(VALU_DEP_1) | instskip(NEXT) | instid1(VALU_DEP_2)
	v_mov_b32_dpp v20, v7 row_shr:2 row_mask:0xf bank_mask:0xf
	v_mov_b32_dpp v23, v9 row_shr:2 row_mask:0xf bank_mask:0xf
	s_delay_alu instid0(VALU_DEP_1) | instskip(NEXT) | instid1(VALU_DEP_1)
	v_dual_mul_f32 v20, v7, v20 :: v_dual_fma_f32 v23, v7, v23, v9
	v_dual_cndmask_b32 v7, v7, v20, s18 :: v_dual_cndmask_b32 v9, v9, v23, s18
	ds_store_2addr_b32 v42, v7, v9 offset1:1
.LBB2_45:                               ;   in Loop: Header=BB2_20 Depth=1
	s_or_b32 exec_lo, exec_lo, s29
	s_wait_dscnt 0x0
	s_barrier_signal -1
	s_barrier_wait -1
                                        ; implicit-def: $vgpr32
	s_and_saveexec_b32 s29, s1
	s_cbranch_execz .LBB2_47
; %bb.46:                               ;   in Loop: Header=BB2_20 Depth=1
	ds_load_2addr_b32 v[32:33], v41 offset1:1
	s_wait_dscnt 0x0
	v_dual_mul_f32 v7, v5, v32 :: v_dual_fmac_f32 v3, v5, v33
	s_delay_alu instid0(VALU_DEP_1)
	v_mov_b32_e32 v5, v7
.LBB2_47:                               ;   in Loop: Header=BB2_20 Depth=1
	s_or_b32 exec_lo, exec_lo, s29
	ds_bpermute_b32 v5, v40, v5
	ds_bpermute_b32 v7, v40, v3
	v_mov_b32_e32 v3, v44
	s_and_saveexec_b32 s29, s2
	s_delay_alu instid0(SALU_CYCLE_1)
	s_xor_b32 s29, exec_lo, s29
	s_cbranch_execz .LBB2_49
; %bb.48:                               ;   in Loop: Header=BB2_20 Depth=1
	s_wait_dscnt 0x0
	v_dual_cndmask_b32 v3, v7, v33, s11 :: v_dual_mov_b32 v6, v18
	v_mov_b32_e32 v7, v26
	;;#ASMSTART
	;;#ASMEND
                                        ; implicit-def: $vgpr30_vgpr31
                                        ; implicit-def: $vgpr20_vgpr21
                                        ; implicit-def: $vgpr22_vgpr23
	s_delay_alu instid0(VALU_DEP_2) | instskip(NEXT) | instid1(VALU_DEP_1)
	v_dual_fmac_f32 v44, v2, v3 :: v_dual_cndmask_b32 v3, v5, v32, s11
	v_dual_fmac_f32 v19, v44, v18 :: v_dual_mul_f32 v2, v2, v3
	s_delay_alu instid0(VALU_DEP_1) | instskip(NEXT) | instid1(VALU_DEP_1)
	v_dual_mov_b32 v3, v19 :: v_dual_mov_b32 v5, v19
	v_pk_fma_f32 v[6:7], v[2:3], v[6:7], v[28:29]
	s_delay_alu instid0(VALU_DEP_1) | instskip(NEXT) | instid1(VALU_DEP_1)
	v_dual_mul_f32 v4, v2, v18 :: v_dual_fmac_f32 v25, v7, v24
	v_mul_f32_e32 v6, v4, v26
	s_delay_alu instid0(VALU_DEP_2) | instskip(NEXT) | instid1(VALU_DEP_2)
	v_dual_mov_b32 v3, v44 :: v_dual_mov_b32 v9, v25
	v_mul_f32_e32 v8, v6, v24
.LBB2_49:                               ;   in Loop: Header=BB2_20 Depth=1
	s_and_not1_saveexec_b32 s29, s29
	s_cbranch_execz .LBB2_51
; %bb.50:                               ;   in Loop: Header=BB2_20 Depth=1
	s_wait_dscnt 0x1
	v_dual_mov_b32 v9, v31 :: v_dual_mov_b32 v5, v21
	s_wait_dscnt 0x0
	v_mov_b32_e32 v7, v22
.LBB2_51:                               ;   in Loop: Header=BB2_20 Depth=1
	s_or_b32 exec_lo, exec_lo, s29
	v_add_nc_u32_e32 v18, 0x4000, v43
	v_add_nc_u32_e32 v19, 0x4008, v43
	s_wait_dscnt 0x1
	scratch_store_b128 off, v[2:5], off
	s_wait_dscnt 0x0
	scratch_store_b128 off, v[6:9], off offset:16
	s_wait_storecnt 0x0
	s_barrier_signal -1
	s_barrier_wait -1
	ds_load_2addr_b32 v[20:21], v18 offset1:1
	ds_load_2addr_b32 v[18:19], v19 offset1:1
	s_wait_xcnt 0x0
	s_and_saveexec_b32 s29, s9
	s_cbranch_execz .LBB2_19
; %bb.52:                               ;   in Loop: Header=BB2_20 Depth=1
	scratch_load_b64 v[22:23], v38, off
	s_add_co_i32 s51, s34, s28
	s_wait_loadcnt 0x0
	v_dual_mov_b32 v24, s51 :: v_dual_mul_f32 v16, v16, v22
	v_fmac_f32_e32 v23, v17, v22
	v_add_nc_u32_e64 v22, 0x9000, s27
	s_clause 0x1
	global_store_b32 v24, v16, s[40:41] scale_offset
	global_store_b32 v24, v23, s[42:43] scale_offset
	ds_store_2addr_b32 v22, v16, v23 offset0:8 offset1:16
	s_branch .LBB2_19
.LBB2_53:                               ;   in Loop: Header=BB2_20 Depth=1
                                        ; implicit-def: $sgpr52_sgpr53
                                        ; implicit-def: $vgpr2
	s_branch .LBB2_23
.LBB2_54:
	v_lshlrev_b64_e32 v[2:3], 2, v[10:11]
	s_add_nc_u64 s[0:1], s[30:31], s[48:49]
	s_add_nc_u64 s[10:11], s[38:39], s[48:49]
	;; [unrolled: 1-line block ×4, first 2 shown]
	s_and_saveexec_b32 s5, s4
	s_cbranch_execnz .LBB2_62
; %bb.55:
	s_or_b32 exec_lo, exec_lo, s5
	s_and_saveexec_b32 s4, s6
	s_cbranch_execnz .LBB2_63
.LBB2_56:
	s_or_b32 exec_lo, exec_lo, s4
	s_and_saveexec_b32 s4, s7
	s_cbranch_execnz .LBB2_64
.LBB2_57:
	s_or_b32 exec_lo, exec_lo, s4
	s_and_saveexec_b32 s4, s8
	s_cbranch_execz .LBB2_59
.LBB2_58:
	v_add_nc_u64_e32 v[4:5], s[2:3], v[2:3]
	v_add_nc_u64_e32 v[2:3], s[0:1], v[2:3]
	global_load_b32 v1, v[4:5], off offset:12
	s_wait_loadcnt 0x0
	v_mul_f32_e32 v4, 0xbfb8aa3b, v1
	s_delay_alu instid0(VALU_DEP_1) | instskip(SKIP_1) | instid1(TRANS32_DEP_1)
	v_exp_f32_e32 v4, v4
	v_nop
	v_add_f32_e32 v4, 1.0, v4
	s_delay_alu instid0(VALU_DEP_1) | instskip(NEXT) | instid1(VALU_DEP_1)
	v_div_scale_f32 v5, null, v4, v4, v1
	v_rcp_f32_e32 v6, v5
	v_nop
	s_delay_alu instid0(TRANS32_DEP_1) | instskip(NEXT) | instid1(VALU_DEP_1)
	v_fma_f32 v7, -v5, v6, 1.0
	v_fmac_f32_e32 v6, v7, v6
	v_div_scale_f32 v7, vcc_lo, v1, v4, v1
	s_delay_alu instid0(VALU_DEP_1) | instskip(NEXT) | instid1(VALU_DEP_1)
	v_mul_f32_e32 v8, v7, v6
	v_fma_f32 v9, -v5, v8, v7
	s_delay_alu instid0(VALU_DEP_1) | instskip(NEXT) | instid1(VALU_DEP_1)
	v_fmac_f32_e32 v8, v9, v6
	v_fma_f32 v5, -v5, v8, v7
	s_delay_alu instid0(VALU_DEP_1) | instskip(NEXT) | instid1(VALU_DEP_1)
	v_div_fmas_f32 v5, v5, v6, v8
	v_div_fixup_f32 v1, v5, v4, v1
	s_delay_alu instid0(VALU_DEP_1)
	v_mul_f32_e32 v1, v13, v1
	global_store_b32 v[2:3], v1, off offset:12
.LBB2_59:
	s_wait_xcnt 0x0
	s_or_b32 exec_lo, exec_lo, s4
	s_add_co_i32 s19, s19, -1
	v_cmp_gt_u32_e32 vcc_lo, 8, v0
	s_cmp_eq_u32 s34, s19
	s_cselect_b32 s0, -1, 0
	s_delay_alu instid0(SALU_CYCLE_1) | instskip(NEXT) | instid1(SALU_CYCLE_1)
	s_and_b32 s0, s0, vcc_lo
	s_and_saveexec_b32 s1, s0
	s_cbranch_execz .LBB2_61
; %bb.60:
	v_lshl_add_u32 v1, v0, 2, 0
	v_add_nc_u32_e32 v0, s33, v0
	ds_load_b32 v1, v1 offset:36928
	s_wait_dscnt 0x0
	global_store_b32 v0, v1, s[36:37] scale_offset
.LBB2_61:
	s_endpgm
.LBB2_62:
	v_add_nc_u64_e32 v[4:5], s[2:3], v[2:3]
	global_load_b32 v1, v[4:5], off
	s_wait_loadcnt 0x0
	v_mul_f32_e32 v4, 0xbfb8aa3b, v1
	s_delay_alu instid0(VALU_DEP_1) | instskip(SKIP_1) | instid1(TRANS32_DEP_1)
	v_exp_f32_e32 v4, v4
	v_nop
	v_add_f32_e32 v4, 1.0, v4
	s_delay_alu instid0(VALU_DEP_1) | instskip(NEXT) | instid1(VALU_DEP_1)
	v_div_scale_f32 v5, null, v4, v4, v1
	v_rcp_f32_e32 v6, v5
	v_nop
	s_delay_alu instid0(TRANS32_DEP_1) | instskip(NEXT) | instid1(VALU_DEP_1)
	v_fma_f32 v7, -v5, v6, 1.0
	v_fmac_f32_e32 v6, v7, v6
	v_div_scale_f32 v7, vcc_lo, v1, v4, v1
	s_delay_alu instid0(VALU_DEP_1) | instskip(NEXT) | instid1(VALU_DEP_1)
	v_mul_f32_e32 v8, v7, v6
	v_fma_f32 v9, -v5, v8, v7
	s_delay_alu instid0(VALU_DEP_1) | instskip(NEXT) | instid1(VALU_DEP_1)
	v_fmac_f32_e32 v8, v9, v6
	v_fma_f32 v5, -v5, v8, v7
	s_delay_alu instid0(VALU_DEP_1) | instskip(NEXT) | instid1(VALU_DEP_1)
	v_div_fmas_f32 v5, v5, v6, v8
	v_div_fixup_f32 v1, v5, v4, v1
	v_add_nc_u64_e32 v[4:5], s[0:1], v[2:3]
	s_delay_alu instid0(VALU_DEP_2)
	v_mul_f32_e32 v1, v14, v1
	global_store_b32 v[4:5], v1, off
	s_wait_xcnt 0x0
	s_or_b32 exec_lo, exec_lo, s5
	s_and_saveexec_b32 s4, s6
	s_cbranch_execz .LBB2_56
.LBB2_63:
	v_add_nc_u64_e32 v[4:5], s[2:3], v[2:3]
	global_load_b32 v1, v[4:5], off offset:4
	s_wait_loadcnt 0x0
	v_mul_f32_e32 v4, 0xbfb8aa3b, v1
	s_delay_alu instid0(VALU_DEP_1) | instskip(SKIP_1) | instid1(TRANS32_DEP_1)
	v_exp_f32_e32 v4, v4
	v_nop
	v_add_f32_e32 v4, 1.0, v4
	s_delay_alu instid0(VALU_DEP_1) | instskip(NEXT) | instid1(VALU_DEP_1)
	v_div_scale_f32 v5, null, v4, v4, v1
	v_rcp_f32_e32 v6, v5
	v_nop
	s_delay_alu instid0(TRANS32_DEP_1) | instskip(NEXT) | instid1(VALU_DEP_1)
	v_fma_f32 v7, -v5, v6, 1.0
	v_fmac_f32_e32 v6, v7, v6
	v_div_scale_f32 v7, vcc_lo, v1, v4, v1
	s_delay_alu instid0(VALU_DEP_1) | instskip(NEXT) | instid1(VALU_DEP_1)
	v_mul_f32_e32 v8, v7, v6
	v_fma_f32 v9, -v5, v8, v7
	s_delay_alu instid0(VALU_DEP_1) | instskip(NEXT) | instid1(VALU_DEP_1)
	v_fmac_f32_e32 v8, v9, v6
	v_fma_f32 v5, -v5, v8, v7
	s_delay_alu instid0(VALU_DEP_1) | instskip(NEXT) | instid1(VALU_DEP_1)
	v_div_fmas_f32 v5, v5, v6, v8
	v_div_fixup_f32 v1, v5, v4, v1
	v_add_nc_u64_e32 v[4:5], s[0:1], v[2:3]
	s_delay_alu instid0(VALU_DEP_2)
	v_mul_f32_e32 v1, v15, v1
	global_store_b32 v[4:5], v1, off offset:4
	s_wait_xcnt 0x0
	s_or_b32 exec_lo, exec_lo, s4
	s_and_saveexec_b32 s4, s7
	s_cbranch_execz .LBB2_57
.LBB2_64:
	v_add_nc_u64_e32 v[4:5], s[2:3], v[2:3]
	global_load_b32 v1, v[4:5], off offset:8
	s_wait_loadcnt 0x0
	v_mul_f32_e32 v4, 0xbfb8aa3b, v1
	s_delay_alu instid0(VALU_DEP_1) | instskip(SKIP_1) | instid1(TRANS32_DEP_1)
	v_exp_f32_e32 v4, v4
	v_nop
	v_add_f32_e32 v4, 1.0, v4
	s_delay_alu instid0(VALU_DEP_1) | instskip(NEXT) | instid1(VALU_DEP_1)
	v_div_scale_f32 v5, null, v4, v4, v1
	v_rcp_f32_e32 v6, v5
	v_nop
	s_delay_alu instid0(TRANS32_DEP_1) | instskip(NEXT) | instid1(VALU_DEP_1)
	v_fma_f32 v7, -v5, v6, 1.0
	v_fmac_f32_e32 v6, v7, v6
	v_div_scale_f32 v7, vcc_lo, v1, v4, v1
	s_delay_alu instid0(VALU_DEP_1) | instskip(NEXT) | instid1(VALU_DEP_1)
	v_mul_f32_e32 v8, v7, v6
	v_fma_f32 v9, -v5, v8, v7
	s_delay_alu instid0(VALU_DEP_1) | instskip(NEXT) | instid1(VALU_DEP_1)
	v_fmac_f32_e32 v8, v9, v6
	v_fma_f32 v5, -v5, v8, v7
	s_delay_alu instid0(VALU_DEP_1) | instskip(NEXT) | instid1(VALU_DEP_1)
	v_div_fmas_f32 v5, v5, v6, v8
	v_div_fixup_f32 v1, v5, v4, v1
	v_add_nc_u64_e32 v[4:5], s[0:1], v[2:3]
	s_delay_alu instid0(VALU_DEP_2)
	v_mul_f32_e32 v1, v12, v1
	global_store_b32 v[4:5], v1, off offset:8
	s_wait_xcnt 0x0
	s_or_b32 exec_lo, exec_lo, s4
	s_and_saveexec_b32 s4, s8
	s_cbranch_execnz .LBB2_58
	s_branch .LBB2_59
	.section	.rodata,"a",@progbits
	.p2align	6, 0x0
	.amdhsa_kernel _Z26selective_scan_vllm_kernelI18SSMFwdKernelTraitsILi128ELi4ELi8ELb1ELb1ELb0EEEv13SSMParamsBase
		.amdhsa_group_segment_fixed_size 0
		.amdhsa_private_segment_fixed_size 48
		.amdhsa_kernarg_size 144
		.amdhsa_user_sgpr_count 2
		.amdhsa_user_sgpr_dispatch_ptr 0
		.amdhsa_user_sgpr_queue_ptr 0
		.amdhsa_user_sgpr_kernarg_segment_ptr 1
		.amdhsa_user_sgpr_dispatch_id 0
		.amdhsa_user_sgpr_kernarg_preload_length 0
		.amdhsa_user_sgpr_kernarg_preload_offset 0
		.amdhsa_user_sgpr_private_segment_size 0
		.amdhsa_wavefront_size32 1
		.amdhsa_uses_dynamic_stack 0
		.amdhsa_enable_private_segment 1
		.amdhsa_system_sgpr_workgroup_id_x 1
		.amdhsa_system_sgpr_workgroup_id_y 1
		.amdhsa_system_sgpr_workgroup_id_z 0
		.amdhsa_system_sgpr_workgroup_info 0
		.amdhsa_system_vgpr_workitem_id 0
		.amdhsa_next_free_vgpr 45
		.amdhsa_next_free_sgpr 58
		.amdhsa_named_barrier_count 0
		.amdhsa_reserve_vcc 1
		.amdhsa_float_round_mode_32 0
		.amdhsa_float_round_mode_16_64 0
		.amdhsa_float_denorm_mode_32 3
		.amdhsa_float_denorm_mode_16_64 3
		.amdhsa_fp16_overflow 0
		.amdhsa_memory_ordered 1
		.amdhsa_forward_progress 1
		.amdhsa_inst_pref_size 37
		.amdhsa_round_robin_scheduling 0
		.amdhsa_exception_fp_ieee_invalid_op 0
		.amdhsa_exception_fp_denorm_src 0
		.amdhsa_exception_fp_ieee_div_zero 0
		.amdhsa_exception_fp_ieee_overflow 0
		.amdhsa_exception_fp_ieee_underflow 0
		.amdhsa_exception_fp_ieee_inexact 0
		.amdhsa_exception_int_div_zero 0
	.end_amdhsa_kernel
	.section	.text._Z26selective_scan_vllm_kernelI18SSMFwdKernelTraitsILi128ELi4ELi8ELb1ELb1ELb0EEEv13SSMParamsBase,"axG",@progbits,_Z26selective_scan_vllm_kernelI18SSMFwdKernelTraitsILi128ELi4ELi8ELb1ELb1ELb0EEEv13SSMParamsBase,comdat
.Lfunc_end2:
	.size	_Z26selective_scan_vllm_kernelI18SSMFwdKernelTraitsILi128ELi4ELi8ELb1ELb1ELb0EEEv13SSMParamsBase, .Lfunc_end2-_Z26selective_scan_vllm_kernelI18SSMFwdKernelTraitsILi128ELi4ELi8ELb1ELb1ELb0EEEv13SSMParamsBase
                                        ; -- End function
	.set _Z26selective_scan_vllm_kernelI18SSMFwdKernelTraitsILi128ELi4ELi8ELb1ELb1ELb0EEEv13SSMParamsBase.num_vgpr, 45
	.set _Z26selective_scan_vllm_kernelI18SSMFwdKernelTraitsILi128ELi4ELi8ELb1ELb1ELb0EEEv13SSMParamsBase.num_agpr, 0
	.set _Z26selective_scan_vllm_kernelI18SSMFwdKernelTraitsILi128ELi4ELi8ELb1ELb1ELb0EEEv13SSMParamsBase.numbered_sgpr, 58
	.set _Z26selective_scan_vllm_kernelI18SSMFwdKernelTraitsILi128ELi4ELi8ELb1ELb1ELb0EEEv13SSMParamsBase.num_named_barrier, 0
	.set _Z26selective_scan_vllm_kernelI18SSMFwdKernelTraitsILi128ELi4ELi8ELb1ELb1ELb0EEEv13SSMParamsBase.private_seg_size, 48
	.set _Z26selective_scan_vllm_kernelI18SSMFwdKernelTraitsILi128ELi4ELi8ELb1ELb1ELb0EEEv13SSMParamsBase.uses_vcc, 1
	.set _Z26selective_scan_vllm_kernelI18SSMFwdKernelTraitsILi128ELi4ELi8ELb1ELb1ELb0EEEv13SSMParamsBase.uses_flat_scratch, 0
	.set _Z26selective_scan_vllm_kernelI18SSMFwdKernelTraitsILi128ELi4ELi8ELb1ELb1ELb0EEEv13SSMParamsBase.has_dyn_sized_stack, 0
	.set _Z26selective_scan_vllm_kernelI18SSMFwdKernelTraitsILi128ELi4ELi8ELb1ELb1ELb0EEEv13SSMParamsBase.has_recursion, 0
	.set _Z26selective_scan_vllm_kernelI18SSMFwdKernelTraitsILi128ELi4ELi8ELb1ELb1ELb0EEEv13SSMParamsBase.has_indirect_call, 0
	.section	.AMDGPU.csdata,"",@progbits
; Kernel info:
; codeLenInByte = 4720
; TotalNumSgprs: 60
; NumVgprs: 45
; ScratchSize: 48
; MemoryBound: 0
; FloatMode: 240
; IeeeMode: 1
; LDSByteSize: 0 bytes/workgroup (compile time only)
; SGPRBlocks: 0
; VGPRBlocks: 2
; NumSGPRsForWavesPerEU: 60
; NumVGPRsForWavesPerEU: 45
; NamedBarCnt: 0
; Occupancy: 16
; WaveLimiterHint : 0
; COMPUTE_PGM_RSRC2:SCRATCH_EN: 1
; COMPUTE_PGM_RSRC2:USER_SGPR: 2
; COMPUTE_PGM_RSRC2:TRAP_HANDLER: 0
; COMPUTE_PGM_RSRC2:TGID_X_EN: 1
; COMPUTE_PGM_RSRC2:TGID_Y_EN: 1
; COMPUTE_PGM_RSRC2:TGID_Z_EN: 0
; COMPUTE_PGM_RSRC2:TIDIG_COMP_CNT: 0
	.section	.text._Z26selective_scan_vllm_kernelI18SSMFwdKernelTraitsILi128ELi4ELi8ELb1ELb0ELb1EEEv13SSMParamsBase,"axG",@progbits,_Z26selective_scan_vllm_kernelI18SSMFwdKernelTraitsILi128ELi4ELi8ELb1ELb0ELb1EEEv13SSMParamsBase,comdat
	.protected	_Z26selective_scan_vllm_kernelI18SSMFwdKernelTraitsILi128ELi4ELi8ELb1ELb0ELb1EEEv13SSMParamsBase ; -- Begin function _Z26selective_scan_vllm_kernelI18SSMFwdKernelTraitsILi128ELi4ELi8ELb1ELb0ELb1EEEv13SSMParamsBase
	.globl	_Z26selective_scan_vllm_kernelI18SSMFwdKernelTraitsILi128ELi4ELi8ELb1ELb0ELb1EEEv13SSMParamsBase
	.p2align	8
	.type	_Z26selective_scan_vllm_kernelI18SSMFwdKernelTraitsILi128ELi4ELi8ELb1ELb0ELb1EEEv13SSMParamsBase,@function
_Z26selective_scan_vllm_kernelI18SSMFwdKernelTraitsILi128ELi4ELi8ELb1ELb0ELb1EEEv13SSMParamsBase: ; @_Z26selective_scan_vllm_kernelI18SSMFwdKernelTraitsILi128ELi4ELi8ELb1ELb0ELb1EEEv13SSMParamsBase
; %bb.0:
	s_clause 0x1
	s_load_b32 s5, s[0:1], 0x4
	s_load_b32 s33, s[0:1], 0x10
	s_bfe_u32 s2, ttmp6, 0x4000c
	s_and_b32 s3, ttmp6, 15
	s_add_co_i32 s2, s2, 1
	s_getreg_b32 s7, hwreg(HW_REG_IB_STS2, 6, 4)
	s_mul_i32 s2, ttmp9, s2
	s_clause 0x1
	s_load_b512 s[12:27], s[0:1], 0x18
	s_load_b256 s[36:43], s[0:1], 0x58
	s_add_co_i32 s3, s3, s2
	s_cmp_eq_u32 s7, 0
	s_clause 0x1
	s_load_b64 s[48:49], s[0:1], 0x88
	s_load_b128 s[28:31], s[0:1], 0x78
	s_cselect_b32 s4, ttmp9, s3
	s_mov_b32 s45, 0
	s_wait_xcnt 0x0
	v_cmp_eq_u32_e64 s1, 0, v0
	s_abs_i32 s44, s4
	s_ashr_i32 s8, s4, 31
	s_wait_kmcnt 0x0
	s_abs_i32 s6, s5
	s_ashr_i32 s9, s5, 31
	s_cvt_f32_u32 s2, s6
	s_sub_co_i32 s3, 0, s6
	s_delay_alu instid0(SALU_CYCLE_2) | instskip(SKIP_1) | instid1(TRANS32_DEP_1)
	v_rcp_iflag_f32_e32 v1, s2
	v_nop
	v_readfirstlane_b32 s2, v1
	s_mul_f32 s0, s2, 0x4f7ffffe
	s_delay_alu instid0(SALU_CYCLE_3) | instskip(SKIP_1) | instid1(SALU_CYCLE_2)
	s_cvt_u32_f32 s2, s0
	v_cmp_ne_u32_e64 s0, 0, v0
	s_mul_i32 s3, s3, s2
	s_delay_alu instid0(SALU_CYCLE_1) | instskip(NEXT) | instid1(SALU_CYCLE_1)
	s_mul_hi_u32 s3, s2, s3
	s_add_co_i32 s2, s2, s3
	s_mov_b32 s3, s45
	s_delay_alu instid0(SALU_CYCLE_1)
	s_mul_u64 s[2:3], s[44:45], s[2:3]
	s_and_saveexec_b32 s2, s1
; %bb.1:
	v_mov_b64_e32 v[2:3], 0x30000007f
	v_mov_b32_e32 v1, 0
	ds_store_b64 v1, v[2:3] offset:36960
; %bb.2:
	s_or_b32 exec_lo, exec_lo, s2
	s_bfe_u32 s2, ttmp6, 0x40010
	s_bfe_u32 s10, ttmp6, 0x40004
	s_add_co_i32 s2, s2, 1
	v_lshlrev_b32_e32 v16, 2, v0
	s_mul_i32 s2, ttmp7, s2
	s_wait_dscnt 0x0
	s_add_co_i32 s10, s10, s2
	s_cmp_eq_u32 s7, 0
	s_mul_i32 s2, s3, s6
	s_cselect_b32 s34, ttmp7, s10
	s_sub_co_i32 s2, s44, s2
	s_xor_b32 s7, s8, s9
	s_add_co_i32 s8, s3, 1
	s_sub_co_i32 s9, s2, s6
	s_cmp_ge_u32 s2, s6
	s_barrier_signal -1
	s_cselect_b32 s3, s8, s3
	s_cselect_b32 s2, s9, s2
	s_add_co_i32 s8, s3, 1
	s_cmp_ge_u32 s2, s6
	s_barrier_wait -1
	s_cselect_b32 s2, s8, s3
	s_lshl_b32 s35, s34, 9
	s_xor_b32 s2, s2, s7
	v_dual_mov_b32 v1, 0 :: v_dual_bitop2_b32 v2, s35, v16 bitop3:0x54
	s_sub_co_i32 s44, s2, s7
	s_delay_alu instid0(SALU_CYCLE_1) | instskip(SKIP_1) | instid1(VALU_DEP_1)
	s_mul_i32 s5, s44, s5
	s_mul_i32 s2, s44, s28
	v_ashrrev_i32_e32 v3, 31, v2
	s_ashr_i32 s3, s2, 31
	s_sub_co_i32 s28, s4, s5
	s_lshl_b64 s[46:47], s[2:3], 2
	s_mul_i32 s2, s28, s29
	v_lshlrev_b64_e32 v[10:11], 2, v[2:3]
	s_ashr_i32 s3, s2, 31
	s_add_nc_u64 s[6:7], s[14:15], s[46:47]
	s_lshl_b64 s[14:15], s[2:3], 2
	s_ashr_i32 s29, s28, 31
	s_add_nc_u64 s[2:3], s[6:7], s[14:15]
	s_add_nc_u64 s[6:7], s[12:13], s[46:47]
	v_add_nc_u64_e32 v[12:13], s[2:3], v[10:11]
	s_add_nc_u64 s[2:3], s[6:7], s[14:15]
	s_lshl_b64 s[12:13], s[28:29], 2
	v_add_nc_u64_e32 v[14:15], s[2:3], v[10:11]
	global_load_b128 v[2:5], v[12:13], off
	global_load_b128 v[6:9], v[14:15], off
	s_add_nc_u64 s[6:7], s[24:25], s[12:13]
	s_wait_xcnt 0x0
	v_mbcnt_lo_u32_b32 v14, -1, 0
	s_load_b32 s24, s[6:7], 0x0
	v_dual_lshrrev_b32 v17, 2, v0 :: v_dual_bitop2_b32 v15, 31, v0 bitop3:0x54
	s_mul_i32 s25, s4, s33
	v_lshl_add_u32 v36, v0, 4, 0
	v_dual_lshlrev_b32 v18, 3, v0 :: v_dual_bitop2_b32 v19, 15, v14 bitop3:0x40
	s_delay_alu instid0(VALU_DEP_3)
	v_cmp_eq_u32_e64 s4, v0, v15
	v_sub_co_u32 v15, s5, v14, 1
	ds_load_b64 v[12:13], v1 offset:36960
	v_add_nc_u32_e32 v38, 0x828, v36
	s_add_nc_u64 s[12:13], s[22:23], s[12:13]
	v_cmp_gt_i32_e32 vcc_lo, 0, v15
	v_add_nc_u32_e32 v37, 0x820, v36
	v_dual_sub_nc_u32 v18, 0, v18 :: v_dual_bitop2_b32 v17, 24, v17 bitop3:0x40
	v_and_b32_e32 v20, 16, v14
	v_dual_cndmask_b32 v14, v15, v14, vcc_lo :: v_dual_bitop2_b32 v21, 3, v14 bitop3:0x40
	s_delay_alu instid0(VALU_DEP_3)
	v_add_nc_u32_e32 v40, 0, v17
	s_mul_i32 s23, s44, s48
	s_lshl_b32 s48, s28, 3
	s_cmp_lg_u32 s34, 0
	s_mul_i32 s22, s44, s30
	v_add_nc_u32_e32 v42, -8, v40
	s_mul_i32 s30, s28, s49
	s_cselect_b32 s44, -1, 0
	s_ashr_i32 s49, s48, 31
	v_cmp_gt_u32_e64 s2, 4, v0
	v_cmp_lt_u32_e64 s3, 31, v0
	v_add_nc_u32_e32 v39, 0x1020, v36
	s_wait_xcnt 0x0
	v_cmp_eq_u32_e64 s6, 0, v19
	v_cmp_lt_u32_e64 s7, 1, v19
	v_cmp_lt_u32_e64 s8, 3, v19
	;; [unrolled: 1-line block ×3, first 2 shown]
	v_cmp_eq_u32_e64 s10, 0, v20
	v_lshlrev_b32_e32 v41, 2, v14
	v_cmp_eq_u32_e64 s11, 0, v21
	v_add3_u32 v16, s22, s35, v16
	v_add_nc_u32_e32 v44, v36, v18
	s_add_co_i32 s30, s30, s23
	s_lshl_b64 s[28:29], s[48:49], 2
	s_ashr_i32 s35, s34, 31
	s_lshl_b32 s22, s25, 3
	s_add_nc_u64 s[16:17], s[16:17], s[28:29]
	s_mov_b32 s48, 0
	s_wait_loadcnt 0x1
	s_wait_kmcnt 0x0
	v_pk_add_f32 v[2:3], v[2:3], s[24:25] op_sel_hi:[1,0]
	v_pk_add_f32 v[4:5], v[4:5], s[24:25] op_sel_hi:[1,0]
	s_wait_loadcnt 0x0
	ds_store_2addr_b32 v36, v6, v7 offset0:8 offset1:9
	ds_store_2addr_b32 v37, v2, v3 offset1:1
	ds_store_2addr_b32 v36, v8, v9 offset0:10 offset1:11
	ds_store_2addr_b32 v38, v4, v5 offset1:1
	s_wait_dscnt 0x0
	s_barrier_signal -1
	s_barrier_wait -1
	s_load_b32 s24, s[12:13], 0x0
	ds_load_2addr_b32 v[2:3], v36 offset0:8 offset1:9
	ds_load_2addr_b32 v[4:5], v36 offset0:10 offset1:11
	v_lshlrev_b32_e32 v6, 3, v13
	s_wait_xcnt 0x0
	v_cmp_lt_u32_e64 s12, 1, v21
	v_cmp_eq_u32_e64 s13, v0, v12
	s_delay_alu instid0(VALU_DEP_3)
	v_mov_b32_e32 v43, v6
	s_wait_dscnt 0x1
	s_wait_kmcnt 0x0
	v_pk_mul_f32 v[14:15], s[24:25], v[2:3] op_sel_hi:[0,1]
	s_wait_dscnt 0x0
	v_pk_mul_f32 v[12:13], s[24:25], v[4:5] op_sel_hi:[0,1]
	s_mov_b32 s24, s30
	s_branch .LBB3_4
.LBB3_3:                                ;   in Loop: Header=BB3_4 Depth=1
	s_wait_xcnt 0x0
	s_or_b32 exec_lo, exec_lo, s23
	v_dual_mov_b32 v18, v19 :: v_dual_mov_b32 v24, v2
	v_dual_mov_b32 v25, v4 :: v_dual_mov_b32 v4, v3
	;; [unrolled: 1-line block ×3, first 2 shown]
	v_dual_mov_b32 v8, v7 :: v_dual_add_nc_u32 v16, s31, v16
	s_delay_alu instid0(VALU_DEP_3) | instskip(SKIP_2) | instid1(VALU_DEP_2)
	v_pk_fma_f32 v[4:5], v[18:19], v[24:25], v[4:5] op_sel_hi:[0,1,1]
	s_addk_co_i32 s48, 0x800
	s_add_co_i32 s45, s45, 4
	v_pk_fma_f32 v[2:3], v[18:19], v[2:3], v[8:9] op_sel_hi:[0,1,1]
	s_add_co_i32 s24, s24, 1
	s_wait_dscnt 0x1
	v_pk_fma_f32 v[14:15], v[22:23], v[4:5], v[14:15]
	s_add_co_i32 s22, s22, s33
	s_cmp_eq_u32 s48, 0x4000
	s_wait_dscnt 0x0
	v_pk_fma_f32 v[12:13], v[20:21], v[2:3], v[12:13]
	s_add_nc_u64 s[16:17], s[16:17], 4
	s_wait_storecnt 0x0
	s_barrier_signal -1
	s_barrier_wait -1
	s_cbranch_scc1 .LBB3_22
.LBB3_4:                                ; =>This Inner Loop Header: Depth=1
	s_and_saveexec_b32 s49, s1
	s_cbranch_execz .LBB3_9
; %bb.5:                                ;   in Loop: Header=BB3_4 Depth=1
	s_and_b32 vcc_lo, exec_lo, s44
	s_cbranch_vccz .LBB3_21
; %bb.6:                                ;   in Loop: Header=BB3_4 Depth=1
	s_ashr_i32 s23, s22, 31
	s_delay_alu instid0(SALU_CYCLE_1) | instskip(NEXT) | instid1(SALU_CYCLE_1)
	s_add_nc_u64 s[28:29], s[34:35], s[22:23]
	s_lshl_b64 s[28:29], s[28:29], 2
	s_delay_alu instid0(SALU_CYCLE_1)
	s_add_nc_u64 s[50:51], s[40:41], s[28:29]
	s_add_nc_u64 s[28:29], s[42:43], s[28:29]
	global_load_b32 v2, v1, s[50:51] offset:-4
	s_add_nc_u64 s[28:29], s[28:29], -4
	s_cbranch_execnz .LBB3_8
.LBB3_7:                                ;   in Loop: Header=BB3_4 Depth=1
	s_ashr_i32 s25, s24, 31
	s_wait_loadcnt 0x0
	v_mov_b32_e32 v2, 1.0
	s_lshl_b64 s[28:29], s[24:25], 2
	s_delay_alu instid0(SALU_CYCLE_1)
	s_add_nc_u64 s[28:29], s[36:37], s[28:29]
.LBB3_8:                                ;   in Loop: Header=BB3_4 Depth=1
	global_load_b32 v3, v1, s[28:29]
	v_add_nc_u32_e64 v4, 0x9000, s45
	s_wait_loadcnt 0x0
	ds_store_2addr_b32 v4, v2, v3 offset0:8 offset1:16
.LBB3_9:                                ;   in Loop: Header=BB3_4 Depth=1
	s_or_b32 exec_lo, exec_lo, s49
	v_ashrrev_i32_e32 v17, 31, v16
	s_delay_alu instid0(VALU_DEP_1) | instskip(NEXT) | instid1(VALU_DEP_1)
	v_lshlrev_b64_e32 v[2:3], 2, v[16:17]
	v_add_nc_u64_e32 v[18:19], s[18:19], v[2:3]
	v_add_nc_u64_e32 v[20:21], s[20:21], v[2:3]
	global_load_b128 v[2:5], v[18:19], off
	global_load_b128 v[6:9], v[20:21], off
	s_wait_xcnt 0x1
	v_add_nc_u32_e32 v18, s48, v39
	s_delay_alu instid0(VALU_DEP_1)
	v_add_nc_u32_e32 v17, 0x4000, v18
	v_add_nc_u32_e32 v45, 0x4008, v18
	s_wait_loadcnt 0x1
	ds_store_2addr_b32 v18, v2, v3 offset1:1
	s_wait_loadcnt 0x0
	ds_store_2addr_b32 v17, v6, v7 offset1:1
	ds_store_2addr_b32 v18, v4, v5 offset0:2 offset1:3
	ds_store_2addr_b32 v45, v8, v9 offset1:1
	s_wait_dscnt 0x0
	s_barrier_signal -1
	s_barrier_wait -1
	global_load_b32 v24, v1, s[16:17]
	ds_load_2addr_b32 v[2:3], v37 offset1:1
	ds_load_2addr_b32 v[4:5], v18 offset1:1
	ds_load_2addr_b32 v[6:7], v36 offset0:8 offset1:9
	ds_load_2addr_b32 v[8:9], v18 offset0:2 offset1:3
	ds_load_2addr_b32 v[18:19], v38 offset1:1
	ds_load_2addr_b32 v[26:27], v36 offset0:10 offset1:11
	s_wait_dscnt 0x4
	v_dual_mul_f32 v4, v2, v4 :: v_dual_mul_f32 v5, v3, v5
	s_wait_loadcnt 0x0
	v_dual_mul_f32 v21, v2, v24 :: v_dual_mul_f32 v20, v3, v24
	s_wait_dscnt 0x3
	s_delay_alu instid0(VALU_DEP_2) | instskip(SKIP_1) | instid1(VALU_DEP_2)
	v_mul_f32_e32 v3, v6, v4
	s_wait_dscnt 0x1
	v_dual_mul_f32 v6, v18, v24 :: v_dual_mul_f32 v21, 0x3fb8aa3b, v21
	v_mul_f32_e32 v20, 0x3fb8aa3b, v20
	s_delay_alu instid0(VALU_DEP_2) | instskip(NEXT) | instid1(VALU_DEP_1)
	v_exp_f32_e32 v2, v21
	v_exp_f32_e32 v20, v20
	s_wait_dscnt 0x0
	v_dual_mul_f32 v21, v7, v5 :: v_dual_mov_b32 v7, v26
	s_delay_alu instid0(TRANS32_DEP_1) | instskip(NEXT) | instid1(VALU_DEP_1)
	v_dual_mov_b32 v4, v2 :: v_dual_mul_f32 v5, v3, v20
	v_pk_add_f32 v[22:23], v[4:5], v[20:21]
	v_mul_f32_e32 v29, v18, v8
	v_mul_f32_e32 v8, v19, v24
	;; [unrolled: 1-line block ×3, first 2 shown]
	v_pk_mul_f32 v[4:5], v[4:5], v[20:21]
	s_delay_alu instid0(VALU_DEP_3) | instskip(NEXT) | instid1(VALU_DEP_3)
	v_mul_f32_e32 v18, 0x3fb8aa3b, v8
	v_exp_f32_e32 v28, v6
	v_nop
	v_mov_b32_e32 v6, v23
	s_delay_alu instid0(TRANS32_DEP_1) | instid1(VALU_DEP_1)
	v_pk_mul_f32 v[30:31], v[6:7], v[28:29]
	s_delay_alu instid0(VALU_DEP_1) | instskip(NEXT) | instid1(VALU_DEP_1)
	v_mov_b32_e32 v8, v31
	v_pk_fma_f32 v[24:25], v[6:7], v[28:29], v[8:9]
	s_delay_alu instid0(VALU_DEP_1) | instskip(SKIP_2) | instid1(TRANS32_DEP_1)
	v_dual_mul_f32 v6, v19, v9 :: v_dual_mov_b32 v5, v24
	v_exp_f32_e32 v26, v18
	v_nop
	v_dual_mul_f32 v27, v27, v6 :: v_dual_mov_b32 v29, v26
	s_delay_alu instid0(VALU_DEP_1) | instskip(NEXT) | instid1(VALU_DEP_2)
	v_pk_mul_f32 v[6:7], v[4:5], v[28:29]
	v_pk_fma_f32 v[32:33], v[4:5], v[28:29], v[26:27]
	s_delay_alu instid0(VALU_DEP_2) | instskip(NEXT) | instid1(VALU_DEP_2)
	v_pk_mul_f32 v[8:9], v[6:7], v[26:27]
	v_mov_b32_dpp v5, v33 row_shr:1 row_mask:0xf bank_mask:0xf
	s_delay_alu instid0(VALU_DEP_2) | instskip(NEXT) | instid1(VALU_DEP_1)
	v_mov_b32_dpp v7, v8 row_shr:1 row_mask:0xf bank_mask:0xf
	v_dual_fma_f32 v5, v8, v5, v33 :: v_dual_mul_f32 v7, v8, v7
	s_delay_alu instid0(VALU_DEP_1) | instskip(NEXT) | instid1(VALU_DEP_1)
	v_dual_cndmask_b32 v5, v5, v33, s6 :: v_dual_cndmask_b32 v7, v7, v8, s6
	v_mov_b32_dpp v9, v5 row_shr:2 row_mask:0xf bank_mask:0xf
	s_delay_alu instid0(VALU_DEP_2) | instskip(NEXT) | instid1(VALU_DEP_1)
	v_mov_b32_dpp v18, v7 row_shr:2 row_mask:0xf bank_mask:0xf
	v_dual_fma_f32 v9, v7, v9, v5 :: v_dual_mul_f32 v18, v7, v18
	s_delay_alu instid0(VALU_DEP_1) | instskip(NEXT) | instid1(VALU_DEP_1)
	v_dual_cndmask_b32 v5, v5, v9, s7 :: v_dual_cndmask_b32 v7, v7, v18, s7
	;; [unrolled: 6-line block ×3, first 2 shown]
	v_mov_b32_dpp v9, v5 row_shr:8 row_mask:0xf bank_mask:0xf
	s_delay_alu instid0(VALU_DEP_2) | instskip(NEXT) | instid1(VALU_DEP_1)
	v_mov_b32_dpp v18, v7 row_shr:8 row_mask:0xf bank_mask:0xf
	v_dual_fma_f32 v9, v7, v9, v5 :: v_dual_mul_f32 v18, v7, v18
	s_delay_alu instid0(VALU_DEP_1)
	v_dual_cndmask_b32 v9, v5, v9, s9 :: v_dual_cndmask_b32 v22, v7, v18, s9
	ds_swizzle_b32 v5, v9 offset:swizzle(BROADCAST,32,15)
	v_add_nc_u32_e64 v18, 0x9000, s45
	ds_swizzle_b32 v7, v22 offset:swizzle(BROADCAST,32,15)
	ds_load_2addr_b32 v[18:19], v18 offset0:8 offset1:16
	s_wait_dscnt 0x1
	v_dual_fma_f32 v25, v22, v5, v9 :: v_dual_mul_f32 v29, v22, v7
	s_delay_alu instid0(VALU_DEP_1) | instskip(NEXT) | instid1(VALU_DEP_2)
	v_cndmask_b32_e64 v5, v25, v9, s10
	v_cndmask_b32_e64 v7, v29, v22, s10
	s_and_saveexec_b32 s23, s4
; %bb.10:                               ;   in Loop: Header=BB3_4 Depth=1
	v_cndmask_b32_e64 v9, v25, v9, s10
	v_cndmask_b32_e64 v22, v29, v22, s10
	ds_store_2addr_b32 v40, v22, v9 offset1:1
; %bb.11:                               ;   in Loop: Header=BB3_4 Depth=1
	s_or_b32 exec_lo, exec_lo, s23
	s_wait_dscnt 0x0
	s_barrier_signal -1
	s_barrier_wait -1
	s_and_saveexec_b32 s23, s2
	s_cbranch_execz .LBB3_13
; %bb.12:                               ;   in Loop: Header=BB3_4 Depth=1
	ds_load_2addr_b32 v[34:35], v44 offset1:1
	s_wait_dscnt 0x0
	v_mov_b32_dpp v9, v34 row_shr:1 row_mask:0xf bank_mask:0xf
	v_mov_b32_dpp v22, v35 row_shr:1 row_mask:0xf bank_mask:0xf
	s_delay_alu instid0(VALU_DEP_1) | instskip(NEXT) | instid1(VALU_DEP_1)
	v_dual_mul_f32 v9, v34, v9 :: v_dual_fma_f32 v22, v34, v22, v35
	v_dual_cndmask_b32 v9, v9, v34, s11 :: v_dual_cndmask_b32 v22, v22, v35, s11
	s_delay_alu instid0(VALU_DEP_1) | instskip(NEXT) | instid1(VALU_DEP_2)
	v_mov_b32_dpp v25, v9 row_shr:2 row_mask:0xf bank_mask:0xf
	v_mov_b32_dpp v29, v22 row_shr:2 row_mask:0xf bank_mask:0xf
	s_delay_alu instid0(VALU_DEP_2) | instskip(NEXT) | instid1(VALU_DEP_2)
	v_mul_f32_e32 v25, v9, v25
	v_fma_f32 v29, v9, v29, v22
	s_delay_alu instid0(VALU_DEP_2) | instskip(NEXT) | instid1(VALU_DEP_2)
	v_cndmask_b32_e64 v9, v9, v25, s12
	v_cndmask_b32_e64 v22, v22, v29, s12
	ds_store_2addr_b32 v44, v9, v22 offset1:1
.LBB3_13:                               ;   in Loop: Header=BB3_4 Depth=1
	s_or_b32 exec_lo, exec_lo, s23
	s_wait_dscnt 0x0
	s_barrier_signal -1
	s_barrier_wait -1
                                        ; implicit-def: $vgpr34
	s_and_saveexec_b32 s23, s3
	s_cbranch_execz .LBB3_15
; %bb.14:                               ;   in Loop: Header=BB3_4 Depth=1
	ds_load_2addr_b32 v[34:35], v42 offset1:1
	s_wait_dscnt 0x0
	v_dual_mul_f32 v9, v7, v34 :: v_dual_fmac_f32 v5, v7, v35
	s_delay_alu instid0(VALU_DEP_1)
	v_mov_b32_e32 v7, v9
.LBB3_15:                               ;   in Loop: Header=BB3_4 Depth=1
	s_or_b32 exec_lo, exec_lo, s23
	ds_bpermute_b32 v7, v41, v7
	ds_bpermute_b32 v5, v41, v5
	s_and_saveexec_b32 s23, s0
	s_delay_alu instid0(SALU_CYCLE_1)
	s_xor_b32 s23, exec_lo, s23
	s_cbranch_execz .LBB3_17
; %bb.16:                               ;   in Loop: Header=BB3_4 Depth=1
	s_wait_dscnt 0x0
	v_dual_cndmask_b32 v4, v5, v35, s5 :: v_dual_mov_b32 v6, v20
	;;#ASMSTART
	;;#ASMEND
                                        ; implicit-def: $vgpr32_vgpr33
                                        ; implicit-def: $vgpr24_vgpr25
	s_delay_alu instid0(VALU_DEP_1) | instskip(NEXT) | instid1(VALU_DEP_1)
	v_dual_fmac_f32 v3, v2, v4 :: v_dual_cndmask_b32 v4, v7, v34, s5
	v_dual_mov_b32 v7, v28 :: v_dual_fmac_f32 v21, v3, v20
	s_delay_alu instid0(VALU_DEP_1) | instskip(NEXT) | instid1(VALU_DEP_1)
	v_dual_mul_f32 v22, v2, v4 :: v_dual_mov_b32 v23, v21
	v_pk_fma_f32 v[6:7], v[22:23], v[6:7], v[30:31]
	v_dual_mul_f32 v4, v22, v20 :: v_dual_mov_b32 v23, v3
	s_delay_alu instid0(VALU_DEP_1) | instskip(SKIP_1) | instid1(VALU_DEP_3)
	v_dual_fmac_f32 v27, v7, v26 :: v_dual_mul_f32 v6, v4, v28
	v_mov_b32_e32 v5, v21
	v_mov_b64_e32 v[2:3], v[22:23]
                                        ; implicit-def: $vgpr22_vgpr23
	s_delay_alu instid0(VALU_DEP_3)
	v_dual_mov_b32 v9, v27 :: v_dual_mul_f32 v8, v6, v26
.LBB3_17:                               ;   in Loop: Header=BB3_4 Depth=1
	s_and_not1_saveexec_b32 s23, s23
	s_cbranch_execz .LBB3_19
; %bb.18:                               ;   in Loop: Header=BB3_4 Depth=1
	s_wait_dscnt 0x0
	v_dual_mov_b32 v9, v33 :: v_dual_mov_b32 v5, v23
	v_mov_b32_e32 v7, v24
.LBB3_19:                               ;   in Loop: Header=BB3_4 Depth=1
	s_or_b32 exec_lo, exec_lo, s23
	s_wait_dscnt 0x0
	s_clause 0x1
	scratch_store_b128 off, v[2:5], off
	scratch_store_b128 off, v[6:9], off offset:16
	s_wait_storecnt 0x0
	s_barrier_signal -1
	s_barrier_wait -1
	ds_load_2addr_b32 v[22:23], v17 offset1:1
	ds_load_2addr_b32 v[20:21], v45 offset1:1
	s_wait_xcnt 0x0
	s_and_saveexec_b32 s23, s13
	s_cbranch_execz .LBB3_3
; %bb.20:                               ;   in Loop: Header=BB3_4 Depth=1
	scratch_load_b64 v[24:25], v43, off
	s_add_co_i32 s25, s34, s22
	s_wait_loadcnt 0x0
	v_dual_mov_b32 v17, s25 :: v_dual_mul_f32 v18, v18, v24
	v_fmac_f32_e32 v25, v19, v24
	v_add_nc_u32_e64 v24, 0x9000, s45
	s_clause 0x1
	global_store_b32 v17, v18, s[40:41] scale_offset
	global_store_b32 v17, v25, s[42:43] scale_offset
	ds_store_2addr_b32 v24, v18, v25 offset0:8 offset1:16
	s_branch .LBB3_3
.LBB3_21:                               ;   in Loop: Header=BB3_4 Depth=1
                                        ; implicit-def: $sgpr28_sgpr29
                                        ; implicit-def: $vgpr2
	s_branch .LBB3_7
.LBB3_22:
	s_add_nc_u64 s[0:1], s[26:27], s[46:47]
	s_add_co_i32 s33, s33, -1
	s_add_nc_u64 s[0:1], s[0:1], s[14:15]
	s_cmp_eq_u32 s34, s33
	v_add_nc_u64_e32 v[2:3], s[0:1], v[10:11]
	s_add_nc_u64 s[0:1], s[38:39], s[46:47]
	s_delay_alu instid0(SALU_CYCLE_1) | instskip(SKIP_3) | instid1(VALU_DEP_1)
	s_add_nc_u64 s[0:1], s[0:1], s[14:15]
	global_load_b32 v1, v[2:3], off
	s_wait_loadcnt 0x0
	v_mul_f32_e32 v4, 0xbfb8aa3b, v1
	v_exp_f32_e32 v4, v4
	v_nop
	s_delay_alu instid0(TRANS32_DEP_1) | instskip(NEXT) | instid1(VALU_DEP_1)
	v_add_f32_e32 v4, 1.0, v4
	v_div_scale_f32 v5, null, v4, v4, v1
	s_delay_alu instid0(VALU_DEP_1) | instskip(SKIP_1) | instid1(TRANS32_DEP_1)
	v_rcp_f32_e32 v6, v5
	v_nop
	v_fma_f32 v7, -v5, v6, 1.0
	s_delay_alu instid0(VALU_DEP_1) | instskip(SKIP_1) | instid1(VALU_DEP_1)
	v_fmac_f32_e32 v6, v7, v6
	v_div_scale_f32 v8, vcc_lo, v1, v4, v1
	v_mul_f32_e32 v7, v8, v6
	s_delay_alu instid0(VALU_DEP_1) | instskip(NEXT) | instid1(VALU_DEP_1)
	v_fma_f32 v9, -v5, v7, v8
	v_fmac_f32_e32 v7, v9, v6
	s_delay_alu instid0(VALU_DEP_1) | instskip(NEXT) | instid1(VALU_DEP_1)
	v_fma_f32 v5, -v5, v7, v8
	v_div_fmas_f32 v5, v5, v6, v7
	s_delay_alu instid0(VALU_DEP_1) | instskip(SKIP_2) | instid1(VALU_DEP_2)
	v_div_fixup_f32 v1, v5, v4, v1
	v_add_nc_u64_e32 v[4:5], s[0:1], v[10:11]
	s_cselect_b32 s0, -1, 0
	v_mul_f32_e32 v1, v14, v1
	global_store_b32 v[4:5], v1, off
	global_load_b32 v1, v[2:3], off offset:4
	s_wait_loadcnt 0x0
	v_mul_f32_e32 v6, 0xbfb8aa3b, v1
	s_delay_alu instid0(VALU_DEP_1) | instskip(SKIP_1) | instid1(TRANS32_DEP_1)
	v_exp_f32_e32 v6, v6
	v_nop
	v_add_f32_e32 v6, 1.0, v6
	s_delay_alu instid0(VALU_DEP_1) | instskip(NEXT) | instid1(VALU_DEP_1)
	v_div_scale_f32 v7, null, v6, v6, v1
	v_rcp_f32_e32 v8, v7
	v_nop
	s_delay_alu instid0(TRANS32_DEP_1) | instskip(NEXT) | instid1(VALU_DEP_1)
	v_fma_f32 v9, -v7, v8, 1.0
	v_fmac_f32_e32 v8, v9, v8
	v_div_scale_f32 v10, vcc_lo, v1, v6, v1
	s_delay_alu instid0(VALU_DEP_1) | instskip(NEXT) | instid1(VALU_DEP_1)
	v_mul_f32_e32 v9, v10, v8
	v_fma_f32 v11, -v7, v9, v10
	s_delay_alu instid0(VALU_DEP_1) | instskip(NEXT) | instid1(VALU_DEP_1)
	v_fmac_f32_e32 v9, v11, v8
	v_fma_f32 v7, -v7, v9, v10
	s_delay_alu instid0(VALU_DEP_1) | instskip(NEXT) | instid1(VALU_DEP_1)
	v_div_fmas_f32 v7, v7, v8, v9
	v_div_fixup_f32 v1, v7, v6, v1
	s_delay_alu instid0(VALU_DEP_1) | instskip(SKIP_4) | instid1(VALU_DEP_1)
	v_mul_f32_e32 v1, v15, v1
	global_store_b32 v[4:5], v1, off offset:4
	global_load_b32 v1, v[2:3], off offset:8
	s_wait_loadcnt 0x0
	v_mul_f32_e32 v6, 0xbfb8aa3b, v1
	v_exp_f32_e32 v6, v6
	v_nop
	s_delay_alu instid0(TRANS32_DEP_1) | instskip(NEXT) | instid1(VALU_DEP_1)
	v_add_f32_e32 v6, 1.0, v6
	v_div_scale_f32 v7, null, v6, v6, v1
	v_div_scale_f32 v10, vcc_lo, v1, v6, v1
	s_delay_alu instid0(VALU_DEP_2) | instskip(SKIP_1) | instid1(TRANS32_DEP_1)
	v_rcp_f32_e32 v8, v7
	v_nop
	v_fma_f32 v9, -v7, v8, 1.0
	s_delay_alu instid0(VALU_DEP_1) | instskip(NEXT) | instid1(VALU_DEP_1)
	v_fmac_f32_e32 v8, v9, v8
	v_mul_f32_e32 v9, v10, v8
	s_delay_alu instid0(VALU_DEP_1) | instskip(NEXT) | instid1(VALU_DEP_1)
	v_fma_f32 v11, -v7, v9, v10
	v_fmac_f32_e32 v9, v11, v8
	s_delay_alu instid0(VALU_DEP_1) | instskip(NEXT) | instid1(VALU_DEP_1)
	v_fma_f32 v7, -v7, v9, v10
	v_div_fmas_f32 v7, v7, v8, v9
	s_delay_alu instid0(VALU_DEP_1) | instskip(NEXT) | instid1(VALU_DEP_1)
	v_div_fixup_f32 v1, v7, v6, v1
	v_mul_f32_e32 v1, v12, v1
	global_store_b32 v[4:5], v1, off offset:8
	global_load_b32 v1, v[2:3], off offset:12
	s_wait_loadcnt 0x0
	v_mul_f32_e32 v2, 0xbfb8aa3b, v1
	s_delay_alu instid0(VALU_DEP_1) | instskip(SKIP_1) | instid1(TRANS32_DEP_1)
	v_exp_f32_e32 v2, v2
	v_nop
	v_add_f32_e32 v2, 1.0, v2
	s_delay_alu instid0(VALU_DEP_1) | instskip(SKIP_1) | instid1(VALU_DEP_2)
	v_div_scale_f32 v3, null, v2, v2, v1
	v_div_scale_f32 v8, vcc_lo, v1, v2, v1
	v_rcp_f32_e32 v6, v3
	v_nop
	s_delay_alu instid0(TRANS32_DEP_1) | instskip(NEXT) | instid1(VALU_DEP_1)
	v_fma_f32 v7, -v3, v6, 1.0
	v_fmac_f32_e32 v6, v7, v6
	s_delay_alu instid0(VALU_DEP_1) | instskip(NEXT) | instid1(VALU_DEP_1)
	v_mul_f32_e32 v7, v8, v6
	v_fma_f32 v9, -v3, v7, v8
	s_delay_alu instid0(VALU_DEP_1) | instskip(NEXT) | instid1(VALU_DEP_1)
	v_fmac_f32_e32 v7, v9, v6
	v_fma_f32 v3, -v3, v7, v8
	s_delay_alu instid0(VALU_DEP_1) | instskip(SKIP_1) | instid1(VALU_DEP_2)
	v_div_fmas_f32 v3, v3, v6, v7
	v_cmp_gt_u32_e32 vcc_lo, 8, v0
	v_div_fixup_f32 v1, v3, v2, v1
	s_and_b32 s0, s0, vcc_lo
	s_delay_alu instid0(VALU_DEP_1)
	v_mul_f32_e32 v1, v13, v1
	global_store_b32 v[4:5], v1, off offset:12
	s_wait_xcnt 0x0
	s_and_saveexec_b32 s1, s0
	s_cbranch_execz .LBB3_24
; %bb.23:
	v_lshl_add_u32 v1, v0, 2, 0
	v_add_nc_u32_e32 v0, s30, v0
	ds_load_b32 v1, v1 offset:36928
	s_wait_dscnt 0x0
	global_store_b32 v0, v1, s[36:37] scale_offset
.LBB3_24:
	s_endpgm
	.section	.rodata,"a",@progbits
	.p2align	6, 0x0
	.amdhsa_kernel _Z26selective_scan_vllm_kernelI18SSMFwdKernelTraitsILi128ELi4ELi8ELb1ELb0ELb1EEEv13SSMParamsBase
		.amdhsa_group_segment_fixed_size 0
		.amdhsa_private_segment_fixed_size 48
		.amdhsa_kernarg_size 144
		.amdhsa_user_sgpr_count 2
		.amdhsa_user_sgpr_dispatch_ptr 0
		.amdhsa_user_sgpr_queue_ptr 0
		.amdhsa_user_sgpr_kernarg_segment_ptr 1
		.amdhsa_user_sgpr_dispatch_id 0
		.amdhsa_user_sgpr_kernarg_preload_length 0
		.amdhsa_user_sgpr_kernarg_preload_offset 0
		.amdhsa_user_sgpr_private_segment_size 0
		.amdhsa_wavefront_size32 1
		.amdhsa_uses_dynamic_stack 0
		.amdhsa_enable_private_segment 1
		.amdhsa_system_sgpr_workgroup_id_x 1
		.amdhsa_system_sgpr_workgroup_id_y 1
		.amdhsa_system_sgpr_workgroup_id_z 0
		.amdhsa_system_sgpr_workgroup_info 0
		.amdhsa_system_vgpr_workitem_id 0
		.amdhsa_next_free_vgpr 46
		.amdhsa_next_free_sgpr 52
		.amdhsa_named_barrier_count 0
		.amdhsa_reserve_vcc 1
		.amdhsa_float_round_mode_32 0
		.amdhsa_float_round_mode_16_64 0
		.amdhsa_float_denorm_mode_32 3
		.amdhsa_float_denorm_mode_16_64 3
		.amdhsa_fp16_overflow 0
		.amdhsa_memory_ordered 1
		.amdhsa_forward_progress 1
		.amdhsa_inst_pref_size 25
		.amdhsa_round_robin_scheduling 0
		.amdhsa_exception_fp_ieee_invalid_op 0
		.amdhsa_exception_fp_denorm_src 0
		.amdhsa_exception_fp_ieee_div_zero 0
		.amdhsa_exception_fp_ieee_overflow 0
		.amdhsa_exception_fp_ieee_underflow 0
		.amdhsa_exception_fp_ieee_inexact 0
		.amdhsa_exception_int_div_zero 0
	.end_amdhsa_kernel
	.section	.text._Z26selective_scan_vllm_kernelI18SSMFwdKernelTraitsILi128ELi4ELi8ELb1ELb0ELb1EEEv13SSMParamsBase,"axG",@progbits,_Z26selective_scan_vllm_kernelI18SSMFwdKernelTraitsILi128ELi4ELi8ELb1ELb0ELb1EEEv13SSMParamsBase,comdat
.Lfunc_end3:
	.size	_Z26selective_scan_vllm_kernelI18SSMFwdKernelTraitsILi128ELi4ELi8ELb1ELb0ELb1EEEv13SSMParamsBase, .Lfunc_end3-_Z26selective_scan_vllm_kernelI18SSMFwdKernelTraitsILi128ELi4ELi8ELb1ELb0ELb1EEEv13SSMParamsBase
                                        ; -- End function
	.set _Z26selective_scan_vllm_kernelI18SSMFwdKernelTraitsILi128ELi4ELi8ELb1ELb0ELb1EEEv13SSMParamsBase.num_vgpr, 46
	.set _Z26selective_scan_vllm_kernelI18SSMFwdKernelTraitsILi128ELi4ELi8ELb1ELb0ELb1EEEv13SSMParamsBase.num_agpr, 0
	.set _Z26selective_scan_vllm_kernelI18SSMFwdKernelTraitsILi128ELi4ELi8ELb1ELb0ELb1EEEv13SSMParamsBase.numbered_sgpr, 52
	.set _Z26selective_scan_vllm_kernelI18SSMFwdKernelTraitsILi128ELi4ELi8ELb1ELb0ELb1EEEv13SSMParamsBase.num_named_barrier, 0
	.set _Z26selective_scan_vllm_kernelI18SSMFwdKernelTraitsILi128ELi4ELi8ELb1ELb0ELb1EEEv13SSMParamsBase.private_seg_size, 48
	.set _Z26selective_scan_vllm_kernelI18SSMFwdKernelTraitsILi128ELi4ELi8ELb1ELb0ELb1EEEv13SSMParamsBase.uses_vcc, 1
	.set _Z26selective_scan_vllm_kernelI18SSMFwdKernelTraitsILi128ELi4ELi8ELb1ELb0ELb1EEEv13SSMParamsBase.uses_flat_scratch, 1
	.set _Z26selective_scan_vllm_kernelI18SSMFwdKernelTraitsILi128ELi4ELi8ELb1ELb0ELb1EEEv13SSMParamsBase.has_dyn_sized_stack, 0
	.set _Z26selective_scan_vllm_kernelI18SSMFwdKernelTraitsILi128ELi4ELi8ELb1ELb0ELb1EEEv13SSMParamsBase.has_recursion, 0
	.set _Z26selective_scan_vllm_kernelI18SSMFwdKernelTraitsILi128ELi4ELi8ELb1ELb0ELb1EEEv13SSMParamsBase.has_indirect_call, 0
	.section	.AMDGPU.csdata,"",@progbits
; Kernel info:
; codeLenInByte = 3156
; TotalNumSgprs: 54
; NumVgprs: 46
; ScratchSize: 48
; MemoryBound: 0
; FloatMode: 240
; IeeeMode: 1
; LDSByteSize: 0 bytes/workgroup (compile time only)
; SGPRBlocks: 0
; VGPRBlocks: 2
; NumSGPRsForWavesPerEU: 54
; NumVGPRsForWavesPerEU: 46
; NamedBarCnt: 0
; Occupancy: 16
; WaveLimiterHint : 0
; COMPUTE_PGM_RSRC2:SCRATCH_EN: 1
; COMPUTE_PGM_RSRC2:USER_SGPR: 2
; COMPUTE_PGM_RSRC2:TRAP_HANDLER: 0
; COMPUTE_PGM_RSRC2:TGID_X_EN: 1
; COMPUTE_PGM_RSRC2:TGID_Y_EN: 1
; COMPUTE_PGM_RSRC2:TGID_Z_EN: 0
; COMPUTE_PGM_RSRC2:TIDIG_COMP_CNT: 0
	.section	.text._Z26selective_scan_vllm_kernelI18SSMFwdKernelTraitsILi128ELi4ELi8ELb1ELb0ELb0EEEv13SSMParamsBase,"axG",@progbits,_Z26selective_scan_vllm_kernelI18SSMFwdKernelTraitsILi128ELi4ELi8ELb1ELb0ELb0EEEv13SSMParamsBase,comdat
	.protected	_Z26selective_scan_vllm_kernelI18SSMFwdKernelTraitsILi128ELi4ELi8ELb1ELb0ELb0EEEv13SSMParamsBase ; -- Begin function _Z26selective_scan_vllm_kernelI18SSMFwdKernelTraitsILi128ELi4ELi8ELb1ELb0ELb0EEEv13SSMParamsBase
	.globl	_Z26selective_scan_vllm_kernelI18SSMFwdKernelTraitsILi128ELi4ELi8ELb1ELb0ELb0EEEv13SSMParamsBase
	.p2align	8
	.type	_Z26selective_scan_vllm_kernelI18SSMFwdKernelTraitsILi128ELi4ELi8ELb1ELb0ELb0EEEv13SSMParamsBase,@function
_Z26selective_scan_vllm_kernelI18SSMFwdKernelTraitsILi128ELi4ELi8ELb1ELb0ELb0EEEv13SSMParamsBase: ; @_Z26selective_scan_vllm_kernelI18SSMFwdKernelTraitsILi128ELi4ELi8ELb1ELb0ELb0EEEv13SSMParamsBase
; %bb.0:
	s_load_b64 s[8:9], s[0:1], 0x4
	s_bfe_u32 s3, ttmp6, 0x4000c
	s_bfe_u32 s4, ttmp6, 0x40010
	s_add_co_i32 s3, s3, 1
	s_add_co_i32 s4, s4, 1
	s_and_b32 s2, ttmp6, 15
	s_bfe_u32 s5, ttmp6, 0x40004
	s_mul_i32 s3, ttmp9, s3
	s_mul_i32 s4, ttmp7, s4
	s_getreg_b32 s6, hwreg(HW_REG_IB_STS2, 6, 4)
	s_add_co_i32 s2, s2, s3
	s_add_co_i32 s5, s5, s4
	s_cmp_eq_u32 s6, 0
	s_load_b512 s[16:31], s[0:1], 0x18
	s_cselect_b32 s55, ttmp9, s2
	s_cselect_b32 s34, ttmp7, s5
	s_clause 0x1
	s_load_b64 s[50:51], s[0:1], 0x88
	s_load_b128 s[44:47], s[0:1], 0x78
	s_mov_b32 s7, 0
	v_cmp_eq_u32_e64 s3, 0, v0
	s_mov_b32 s5, s7
	s_wait_kmcnt 0x0
	s_abs_i32 s10, s8
	s_ashr_i32 s11, s55, 31
	s_cvt_f32_u32 s2, s10
	s_sub_co_i32 s6, 0, s10
	s_delay_alu instid0(SALU_CYCLE_2) | instskip(SKIP_1) | instid1(TRANS32_DEP_1)
	v_rcp_iflag_f32_e32 v1, s2
	v_nop
	v_readfirstlane_b32 s2, v1
	s_mul_f32 s2, s2, 0x4f7ffffe
	s_delay_alu instid0(SALU_CYCLE_3) | instskip(SKIP_1) | instid1(SALU_CYCLE_2)
	s_cvt_u32_f32 s4, s2
	v_cmp_ne_u32_e64 s2, 0, v0
	s_mul_i32 s6, s6, s4
	s_delay_alu instid0(SALU_CYCLE_1)
	s_mul_hi_u32 s12, s4, s6
	s_abs_i32 s6, s55
	s_add_co_i32 s4, s4, s12
	s_ashr_i32 s12, s8, 31
	s_mul_u64 s[4:5], s[6:7], s[4:5]
	s_lshl_b32 s4, s34, 9
	s_and_saveexec_b32 s7, s3
	s_cbranch_execz .LBB4_2
; %bb.1:
	s_add_co_i32 s13, s4, 0x200
	s_not_b32 s14, s4
	s_min_i32 s13, s13, s9
	v_mov_b32_e32 v1, 0
	s_add_co_i32 s13, s13, s14
	s_delay_alu instid0(SALU_CYCLE_1) | instskip(NEXT) | instid1(SALU_CYCLE_1)
	s_ashr_i32 s14, s13, 31
	s_lshr_b32 s14, s14, 30
	s_delay_alu instid0(SALU_CYCLE_1) | instskip(NEXT) | instid1(SALU_CYCLE_1)
	s_add_co_i32 s14, s13, s14
	s_and_b32 s15, s14, -4
	s_ashr_i32 s14, s14, 2
	s_sub_co_i32 s13, s13, s15
	s_delay_alu instid0(SALU_CYCLE_1)
	v_dual_mov_b32 v2, s14 :: v_dual_mov_b32 v3, s13
	ds_store_b64 v1, v[2:3] offset:36960
.LBB4_2:
	s_or_b32 exec_lo, exec_lo, s7
	s_mul_i32 s7, s5, s10
	s_xor_b32 s11, s11, s12
	s_sub_co_i32 s6, s6, s7
	s_add_co_i32 s7, s5, 1
	s_sub_co_i32 s12, s6, s10
	s_cmp_ge_u32 s6, s10
	v_dual_mov_b32 v4, 0 :: v_dual_lshlrev_b32 v1, 2, v0
	s_cselect_b32 s5, s7, s5
	s_cselect_b32 s6, s12, s6
	s_add_co_i32 s7, s5, 1
	s_cmp_ge_u32 s6, s10
	s_wait_dscnt 0x0
	s_barrier_signal -1
	s_barrier_wait -1
	ds_load_b64 v[2:3], v4 offset:36960
	s_cselect_b32 s5, s7, s5
	v_dual_mov_b32 v5, 0 :: v_dual_add_nc_u32 v10, s4, v1
	s_xor_b32 s5, s5, s11
	s_delay_alu instid0(SALU_CYCLE_1) | instskip(NEXT) | instid1(VALU_DEP_1)
	s_sub_co_i32 s33, s5, s11
	v_cmp_gt_i32_e64 s4, s9, v10
	s_mul_i32 s5, s33, s8
	s_mul_i32 s6, s33, s44
	s_sub_co_i32 s52, s55, s5
	s_ashr_i32 s7, s6, 31
	s_ashr_i32 s53, s52, 31
	s_lshl_b64 s[48:49], s[6:7], 2
	s_mul_i32 s6, s52, s45
	s_add_nc_u64 s[12:13], s[16:17], s[48:49]
	s_ashr_i32 s7, s6, 31
	s_lshl_b64 s[10:11], s[52:53], 2
	s_lshl_b64 s[44:45], s[6:7], 2
	v_cmp_le_i32_e64 s7, s9, v10
	s_add_nc_u64 s[14:15], s[12:13], s[44:45]
	s_add_nc_u64 s[12:13], s[28:29], s[10:11]
	s_and_saveexec_b32 s5, s4
	s_cbranch_execz .LBB4_4
; %bb.3:
	global_load_b32 v5, v10, s[14:15] scale_offset
.LBB4_4:
	s_wait_xcnt 0x0
	s_or_b32 exec_lo, exec_lo, s5
	s_load_b32 s16, s[12:13], 0x0
	s_wait_xcnt 0x0
	s_add_nc_u64 s[12:13], s[18:19], s[48:49]
	s_delay_alu instid0(SALU_CYCLE_1)
	s_add_nc_u64 s[12:13], s[12:13], s[44:45]
	s_and_saveexec_b32 s5, s4
	s_cbranch_execz .LBB4_6
; %bb.5:
	global_load_b32 v4, v10, s[12:13] scale_offset
.LBB4_6:
	s_wait_xcnt 0x0
	s_or_b32 exec_lo, exec_lo, s5
	v_lshl_add_u32 v1, v1, 2, 0
	s_wait_loadcnt 0x0
	s_wait_kmcnt 0x0
	v_dual_add_f32 v7, s16, v4 :: v_dual_bitop2_b32 v6, 1, v10 bitop3:0x54
	s_delay_alu instid0(VALU_DEP_2) | instskip(NEXT) | instid1(VALU_DEP_2)
	v_dual_mov_b32 v4, 0 :: v_dual_add_nc_u32 v8, 32, v1
	v_cmp_gt_i32_e64 s5, s9, v6
	v_mov_b32_e32 v6, 0
	ds_store_2addr_stride64_b32 v8, v5, v7 offset1:8
	s_and_saveexec_b32 s6, s5
	s_cbranch_execz .LBB4_8
; %bb.7:
	global_load_b32 v4, v10, s[14:15] offset:4 scale_offset
.LBB4_8:
	s_wait_xcnt 0x0
	s_or_b32 exec_lo, exec_lo, s6
	s_and_saveexec_b32 s6, s5
	s_cbranch_execz .LBB4_10
; %bb.9:
	global_load_b32 v6, v10, s[12:13] offset:4 scale_offset
.LBB4_10:
	s_wait_xcnt 0x0
	s_or_b32 exec_lo, exec_lo, s6
	v_dual_add_nc_u32 v8, 36, v1 :: v_dual_bitop2_b32 v5, 2, v10 bitop3:0x54
	s_wait_loadcnt 0x0
	v_dual_add_f32 v7, s16, v6 :: v_dual_mov_b32 v6, 0
	s_delay_alu instid0(VALU_DEP_2)
	v_cmp_gt_i32_e64 s6, s9, v5
	v_mov_b32_e32 v5, 0
	ds_store_2addr_stride64_b32 v8, v4, v7 offset1:8
	s_and_saveexec_b32 s8, s6
	s_cbranch_execz .LBB4_12
; %bb.11:
	global_load_b32 v5, v10, s[14:15] offset:8 scale_offset
.LBB4_12:
	s_wait_xcnt 0x0
	s_or_b32 exec_lo, exec_lo, s8
	s_and_saveexec_b32 s8, s6
	s_cbranch_execz .LBB4_14
; %bb.13:
	global_load_b32 v6, v10, s[12:13] offset:8 scale_offset
.LBB4_14:
	s_wait_xcnt 0x0
	s_or_b32 exec_lo, exec_lo, s8
	v_dual_add_nc_u32 v7, 40, v1 :: v_dual_bitop2_b32 v4, 3, v10 bitop3:0x54
	s_wait_loadcnt 0x0
	v_add_f32_e32 v6, s16, v6
	s_delay_alu instid0(VALU_DEP_2)
	v_cmp_le_i32_e32 vcc_lo, s9, v4
	v_cmp_gt_i32_e64 s8, s9, v4
	v_mov_b32_e32 v4, 0
	ds_store_2addr_stride64_b32 v7, v5, v6 offset1:8
	s_and_saveexec_b32 s9, s8
	s_cbranch_execz .LBB4_16
; %bb.15:
	global_load_b32 v4, v10, s[14:15] offset:12 scale_offset
.LBB4_16:
	s_wait_xcnt 0x0
	s_or_b32 exec_lo, exec_lo, s9
	v_ashrrev_i32_e32 v11, 31, v10
	s_and_saveexec_b32 s9, vcc_lo
	s_delay_alu instid0(SALU_CYCLE_1) | instskip(NEXT) | instid1(SALU_CYCLE_1)
	s_xor_b32 s9, exec_lo, s9
	s_or_saveexec_b32 s9, s9
	s_clause 0x1
	s_load_b32 s19, s[0:1], 0x10
	s_load_b256 s[36:43], s[0:1], 0x58
	v_dual_mov_b32 v34, 0 :: v_dual_mov_b32 v5, 0
	s_xor_b32 exec_lo, exec_lo, s9
	s_cbranch_execz .LBB4_18
; %bb.17:
	global_load_b32 v5, v10, s[12:13] offset:12 scale_offset
.LBB4_18:
	s_wait_xcnt 0x0
	s_or_b32 exec_lo, exec_lo, s9
	v_dual_add_nc_u32 v6, 44, v1 :: v_dual_bitop2_b32 v16, 31, v0 bitop3:0x54
	v_mbcnt_lo_u32_b32 v8, -1, 0
	s_wait_loadcnt 0x0
	v_add_f32_e32 v5, s16, v5
	s_add_nc_u64 s[0:1], s[26:27], s[10:11]
	s_lshl_b32 s28, s52, 3
	s_cmp_lg_u32 s34, 0
	v_and_b32_e32 v9, 15, v8
	ds_store_2addr_stride64_b32 v6, v4, v5 offset1:8
	s_wait_dscnt 0x0
	s_barrier_signal -1
	s_barrier_wait -1
	s_load_b32 s12, s[0:1], 0x0
	ds_load_2addr_b32 v[4:5], v1 offset0:10 offset1:11
	ds_load_2addr_b32 v[6:7], v1 offset0:8 offset1:9
	s_wait_xcnt 0x0
	v_sub_co_u32 v18, s0, v8, 1
	s_mul_i32 s26, s33, s46
	s_mul_i32 s33, s33, s50
	;; [unrolled: 1-line block ×3, first 2 shown]
	v_cmp_gt_i32_e32 vcc_lo, 0, v18
	v_and_b32_e32 v17, 16, v8
	s_cselect_b32 s54, -1, 0
	s_ashr_i32 s29, s28, 31
	v_cmp_eq_u32_e64 s1, 0, v9
	v_lshlrev_b32_e32 v3, 3, v3
	v_cmp_lt_u32_e64 s9, 1, v9
	v_cmp_lt_u32_e64 s10, 3, v9
	;; [unrolled: 1-line block ×3, first 2 shown]
	v_cmp_gt_u32_e64 s14, 4, v0
	v_mov_b32_e32 v38, v3
	v_cmp_lt_u32_e64 s15, 31, v0
	s_add_co_i32 s33, s16, s33
	s_wait_dscnt 0x1
	s_wait_kmcnt 0x0
	v_pk_mul_f32 v[12:13], s[12:13], v[4:5] op_sel_hi:[0,1]
	v_cndmask_b32_e32 v4, v18, v8, vcc_lo
	v_lshrrev_b32_e32 v5, 2, v0
	s_wait_dscnt 0x0
	v_pk_mul_f32 v[14:15], s[12:13], v[6:7] op_sel_hi:[0,1]
	v_cmp_eq_u32_e64 s12, 0, v17
	v_cmp_eq_u32_e64 s13, v0, v16
	v_dual_lshlrev_b32 v35, 2, v4 :: v_dual_bitop2_b32 v4, 24, v5 bitop3:0x40
	v_lshlrev_b32_e32 v5, 3, v0
	v_and_b32_e32 v6, 3, v8
	v_cmp_eq_u32_e64 s18, v0, v2
	v_lshl_add_u32 v39, v0, 4, 0x1020
	s_delay_alu instid0(VALU_DEP_4) | instskip(NEXT) | instid1(VALU_DEP_4)
	v_dual_add_nc_u32 v36, 0, v4 :: v_dual_sub_nc_u32 v4, 0, v5
	v_cmp_eq_u32_e64 s16, 0, v6
	v_cmp_lt_u32_e64 s17, 1, v6
	v_add_nc_u32_e32 v40, 0x820, v1
	v_add_nc_u32_e32 v41, 0x828, v1
	;; [unrolled: 1-line block ×3, first 2 shown]
	v_add_nc_u32_e32 v37, -8, v36
	s_mul_i32 s55, s55, s19
	s_lshl_b64 s[50:51], s[28:29], 2
	s_mov_b32 s46, 0
	s_ashr_i32 s35, s34, 31
	s_lshl_b32 s28, s55, 3
	s_add_nc_u64 s[20:21], s[20:21], s[50:51]
	s_mov_b32 s50, s33
	s_branch .LBB4_20
.LBB4_19:                               ;   in Loop: Header=BB4_20 Depth=1
	s_wait_xcnt 0x0
	s_or_b32 exec_lo, exec_lo, s29
	v_dual_mov_b32 v16, v17 :: v_dual_mov_b32 v22, v2
	v_dual_mov_b32 v23, v4 :: v_dual_mov_b32 v4, v3
	;; [unrolled: 1-line block ×3, first 2 shown]
	v_dual_mov_b32 v8, v7 :: v_dual_add_nc_u32 v39, 0x800, v39
	s_delay_alu instid0(VALU_DEP_3) | instskip(SKIP_2) | instid1(VALU_DEP_2)
	v_pk_fma_f32 v[4:5], v[16:17], v[22:23], v[4:5] op_sel_hi:[0,1,1]
	s_add_co_i32 s46, s46, 4
	s_add_co_i32 s26, s26, s47
	v_pk_fma_f32 v[2:3], v[16:17], v[2:3], v[8:9] op_sel_hi:[0,1,1]
	s_add_co_i32 s50, s50, 1
	s_wait_dscnt 0x1
	v_pk_fma_f32 v[14:15], v[20:21], v[4:5], v[14:15]
	s_add_co_i32 s28, s28, s19
	s_cmp_eq_u32 s46, 32
	s_wait_dscnt 0x0
	v_pk_fma_f32 v[12:13], v[18:19], v[2:3], v[12:13]
	s_add_nc_u64 s[20:21], s[20:21], 4
	s_wait_storecnt 0x0
	s_barrier_signal -1
	s_barrier_wait -1
	s_cbranch_scc1 .LBB4_54
.LBB4_20:                               ; =>This Inner Loop Header: Depth=1
	s_and_saveexec_b32 s27, s3
	s_cbranch_execz .LBB4_25
; %bb.21:                               ;   in Loop: Header=BB4_20 Depth=1
	s_and_b32 vcc_lo, exec_lo, s54
	s_cbranch_vccz .LBB4_53
; %bb.22:                               ;   in Loop: Header=BB4_20 Depth=1
	s_ashr_i32 s29, s28, 31
	s_delay_alu instid0(SALU_CYCLE_1) | instskip(NEXT) | instid1(SALU_CYCLE_1)
	s_add_nc_u64 s[52:53], s[34:35], s[28:29]
	s_lshl_b64 s[52:53], s[52:53], 2
	s_delay_alu instid0(SALU_CYCLE_1)
	s_add_nc_u64 s[56:57], s[40:41], s[52:53]
	s_add_nc_u64 s[52:53], s[42:43], s[52:53]
	global_load_b32 v2, v34, s[56:57] offset:-4
	s_add_nc_u64 s[52:53], s[52:53], -4
	s_cbranch_execnz .LBB4_24
.LBB4_23:                               ;   in Loop: Header=BB4_20 Depth=1
	s_ashr_i32 s51, s50, 31
	s_wait_loadcnt 0x0
	v_mov_b32_e32 v2, 1.0
	s_lshl_b64 s[52:53], s[50:51], 2
	s_delay_alu instid0(SALU_CYCLE_1)
	s_add_nc_u64 s[52:53], s[36:37], s[52:53]
.LBB4_24:                               ;   in Loop: Header=BB4_20 Depth=1
	global_load_b32 v3, v34, s[52:53]
	s_add_co_i32 s29, s46, 0
	s_delay_alu instid0(SALU_CYCLE_1)
	v_add_nc_u32_e64 v4, 0x9000, s29
	s_wait_loadcnt 0x0
	ds_store_2addr_b32 v4, v2, v3 offset0:8 offset1:16
.LBB4_25:                               ;   in Loop: Header=BB4_20 Depth=1
	s_or_b32 exec_lo, exec_lo, s27
	v_add_nc_u32_e32 v43, 0, v39
	s_and_saveexec_b32 s27, s7
	s_delay_alu instid0(SALU_CYCLE_1)
	s_xor_b32 s27, exec_lo, s27
; %bb.26:                               ;   in Loop: Header=BB4_20 Depth=1
	ds_store_b32 v43, v34
; %bb.27:                               ;   in Loop: Header=BB4_20 Depth=1
	s_or_saveexec_b32 s27, s27
	v_dual_mov_b32 v3, 0 :: v_dual_mov_b32 v2, 0
	s_xor_b32 exec_lo, exec_lo, s27
	s_cbranch_execz .LBB4_29
; %bb.28:                               ;   in Loop: Header=BB4_20 Depth=1
	v_add_nc_u32_e32 v4, s26, v10
	s_clause 0x1
	global_load_b32 v5, v4, s[22:23] scale_offset
	global_load_b32 v2, v4, s[24:25] scale_offset
	s_wait_loadcnt 0x1
	ds_store_b32 v43, v5
.LBB4_29:                               ;   in Loop: Header=BB4_20 Depth=1
	s_wait_xcnt 0x0
	s_or_b32 exec_lo, exec_lo, s27
	s_wait_loadcnt 0x0
	ds_store_b32 v43, v2 offset:16384
	s_and_saveexec_b32 s29, s5
	s_cbranch_execz .LBB4_31
; %bb.30:                               ;   in Loop: Header=BB4_20 Depth=1
	s_ashr_i32 s27, s26, 31
	s_delay_alu instid0(SALU_CYCLE_1) | instskip(NEXT) | instid1(VALU_DEP_1)
	v_add_nc_u64_e32 v[2:3], s[26:27], v[10:11]
	v_lshl_add_u64 v[2:3], v[2:3], 2, s[22:23]
	global_load_b32 v3, v[2:3], off offset:4
.LBB4_31:                               ;   in Loop: Header=BB4_20 Depth=1
	s_wait_xcnt 0x0
	s_or_b32 exec_lo, exec_lo, s29
	v_dual_mov_b32 v2, 0 :: v_dual_mov_b32 v4, 0
	s_wait_loadcnt 0x0
	ds_store_b32 v43, v3 offset:4
	s_and_saveexec_b32 s29, s5
	s_cbranch_execz .LBB4_33
; %bb.32:                               ;   in Loop: Header=BB4_20 Depth=1
	s_ashr_i32 s27, s26, 31
	s_delay_alu instid0(SALU_CYCLE_1) | instskip(NEXT) | instid1(VALU_DEP_1)
	v_add_nc_u64_e32 v[4:5], s[26:27], v[10:11]
	v_lshl_add_u64 v[4:5], v[4:5], 2, s[24:25]
	global_load_b32 v4, v[4:5], off offset:4
.LBB4_33:                               ;   in Loop: Header=BB4_20 Depth=1
	s_wait_xcnt 0x0
	s_or_b32 exec_lo, exec_lo, s29
	s_wait_loadcnt 0x0
	ds_store_b32 v43, v4 offset:16388
	s_and_saveexec_b32 s29, s6
	s_cbranch_execz .LBB4_35
; %bb.34:                               ;   in Loop: Header=BB4_20 Depth=1
	s_ashr_i32 s27, s26, 31
	s_delay_alu instid0(SALU_CYCLE_1) | instskip(NEXT) | instid1(VALU_DEP_1)
	v_add_nc_u64_e32 v[2:3], s[26:27], v[10:11]
	v_lshl_add_u64 v[2:3], v[2:3], 2, s[22:23]
	global_load_b32 v2, v[2:3], off offset:8
.LBB4_35:                               ;   in Loop: Header=BB4_20 Depth=1
	s_wait_xcnt 0x0
	s_or_b32 exec_lo, exec_lo, s29
	v_dual_mov_b32 v3, 0 :: v_dual_mov_b32 v4, 0
	s_wait_loadcnt 0x0
	ds_store_b32 v43, v2 offset:8
	s_and_saveexec_b32 s29, s6
	s_cbranch_execz .LBB4_37
; %bb.36:                               ;   in Loop: Header=BB4_20 Depth=1
	s_ashr_i32 s27, s26, 31
	s_delay_alu instid0(SALU_CYCLE_1) | instskip(NEXT) | instid1(VALU_DEP_1)
	v_add_nc_u64_e32 v[4:5], s[26:27], v[10:11]
	v_lshl_add_u64 v[4:5], v[4:5], 2, s[24:25]
	global_load_b32 v4, v[4:5], off offset:8
.LBB4_37:                               ;   in Loop: Header=BB4_20 Depth=1
	s_wait_xcnt 0x0
	s_or_b32 exec_lo, exec_lo, s29
	s_wait_loadcnt 0x0
	ds_store_b32 v43, v4 offset:16392
	s_and_saveexec_b32 s29, s8
	s_cbranch_execz .LBB4_39
; %bb.38:                               ;   in Loop: Header=BB4_20 Depth=1
	s_ashr_i32 s27, s26, 31
	s_delay_alu instid0(SALU_CYCLE_1) | instskip(NEXT) | instid1(VALU_DEP_1)
	v_add_nc_u64_e32 v[2:3], s[26:27], v[10:11]
	v_lshl_add_u64 v[2:3], v[2:3], 2, s[22:23]
	global_load_b32 v3, v[2:3], off offset:12
.LBB4_39:                               ;   in Loop: Header=BB4_20 Depth=1
	s_wait_xcnt 0x0
	s_or_b32 exec_lo, exec_lo, s29
	v_mov_b32_e32 v2, 0
	s_wait_loadcnt 0x0
	ds_store_b32 v43, v3 offset:12
	s_and_saveexec_b32 s29, s8
	s_cbranch_execz .LBB4_41
; %bb.40:                               ;   in Loop: Header=BB4_20 Depth=1
	s_ashr_i32 s27, s26, 31
	s_delay_alu instid0(SALU_CYCLE_1) | instskip(NEXT) | instid1(VALU_DEP_1)
	v_add_nc_u64_e32 v[2:3], s[26:27], v[10:11]
	v_lshl_add_u64 v[2:3], v[2:3], 2, s[24:25]
	global_load_b32 v2, v[2:3], off offset:12
.LBB4_41:                               ;   in Loop: Header=BB4_20 Depth=1
	s_wait_xcnt 0x0
	s_or_b32 exec_lo, exec_lo, s29
	s_wait_loadcnt 0x0
	ds_store_b32 v43, v2 offset:16396
	s_wait_dscnt 0x0
	s_barrier_signal -1
	s_barrier_wait -1
	global_load_b32 v22, v34, s[20:21]
	ds_load_2addr_b32 v[2:3], v40 offset1:1
	ds_load_2addr_b32 v[4:5], v43 offset1:1
	ds_load_2addr_b32 v[6:7], v1 offset0:8 offset1:9
	ds_load_2addr_b32 v[8:9], v43 offset0:2 offset1:3
	ds_load_2addr_b32 v[16:17], v41 offset1:1
	ds_load_2addr_b32 v[24:25], v1 offset0:10 offset1:11
	s_add_co_i32 s27, s46, 0
	s_wait_loadcnt_dscnt 0x1
	v_dual_mul_f32 v27, v16, v8 :: v_dual_mul_f32 v18, v3, v22
	v_dual_mul_f32 v19, v2, v22 :: v_dual_mul_f32 v2, v2, v4
	v_dual_mul_f32 v3, v3, v5 :: v_dual_mul_f32 v5, v16, v22
	s_delay_alu instid0(VALU_DEP_3) | instskip(SKIP_1) | instid1(VALU_DEP_4)
	v_mul_f32_e32 v18, 0x3fb8aa3b, v18
	v_add_nc_u32_e64 v16, 0x9000, s27
	v_mul_f32_e32 v44, v6, v2
	v_mul_f32_e32 v6, v17, v22
	s_delay_alu instid0(VALU_DEP_4) | instskip(SKIP_1) | instid1(TRANS32_DEP_1)
	v_exp_f32_e32 v18, v18
	v_mul_f32_e32 v4, 0x3fb8aa3b, v19
	v_dual_mul_f32 v19, v7, v3 :: v_dual_mul_f32 v3, v44, v18
	s_delay_alu instid0(VALU_DEP_2) | instskip(SKIP_2) | instid1(VALU_DEP_1)
	v_exp_f32_e32 v2, v4
	v_nop
	v_mul_f32_e32 v4, 0x3fb8aa3b, v5
	v_exp_f32_e32 v26, v4
	s_delay_alu instid0(TRANS32_DEP_2) | instskip(SKIP_1) | instid1(VALU_DEP_1)
	v_pk_add_f32 v[20:21], v[2:3], v[18:19]
	s_wait_dscnt 0x0
	v_dual_mov_b32 v5, v24 :: v_dual_mov_b32 v4, v21
	s_delay_alu instid0(TRANS32_DEP_1) | instid1(VALU_DEP_1)
	v_pk_mul_f32 v[28:29], v[4:5], v[26:27]
	s_delay_alu instid0(VALU_DEP_1) | instskip(NEXT) | instid1(VALU_DEP_1)
	v_dual_mul_f32 v7, 0x3fb8aa3b, v6 :: v_dual_mov_b32 v6, v29
	v_exp_f32_e32 v24, v7
	s_delay_alu instid0(VALU_DEP_1) | instskip(SKIP_2) | instid1(TRANS32_DEP_1)
	v_pk_fma_f32 v[22:23], v[4:5], v[26:27], v[6:7]
	v_mul_f32_e32 v6, v17, v9
	v_pk_mul_f32 v[4:5], v[2:3], v[18:19]
	v_mov_b32_e32 v27, v24
	ds_load_2addr_b32 v[16:17], v16 offset0:8 offset1:16
	v_dual_mov_b32 v5, v22 :: v_dual_mul_f32 v25, v25, v6
	s_delay_alu instid0(VALU_DEP_1) | instskip(NEXT) | instid1(VALU_DEP_2)
	v_pk_mul_f32 v[6:7], v[4:5], v[26:27]
	v_pk_fma_f32 v[30:31], v[4:5], v[26:27], v[24:25]
	s_delay_alu instid0(VALU_DEP_2) | instskip(NEXT) | instid1(VALU_DEP_2)
	v_pk_mul_f32 v[8:9], v[6:7], v[24:25]
	v_mov_b32_dpp v3, v31 row_shr:1 row_mask:0xf bank_mask:0xf
	s_delay_alu instid0(VALU_DEP_2) | instskip(NEXT) | instid1(VALU_DEP_1)
	v_mov_b32_dpp v5, v8 row_shr:1 row_mask:0xf bank_mask:0xf
	v_dual_fma_f32 v3, v8, v3, v31 :: v_dual_mul_f32 v5, v8, v5
	s_delay_alu instid0(VALU_DEP_1) | instskip(NEXT) | instid1(VALU_DEP_1)
	v_dual_cndmask_b32 v3, v3, v31, s1 :: v_dual_cndmask_b32 v5, v5, v8, s1
	v_mov_b32_dpp v7, v3 row_shr:2 row_mask:0xf bank_mask:0xf
	s_delay_alu instid0(VALU_DEP_1) | instskip(NEXT) | instid1(VALU_DEP_1)
	v_fma_f32 v7, v5, v7, v3
	v_cndmask_b32_e64 v3, v3, v7, s9
	v_mov_b32_dpp v9, v5 row_shr:2 row_mask:0xf bank_mask:0xf
	s_delay_alu instid0(VALU_DEP_1) | instskip(NEXT) | instid1(VALU_DEP_3)
	v_mul_f32_e32 v9, v5, v9
	v_mov_b32_dpp v7, v3 row_shr:4 row_mask:0xf bank_mask:0xf
	s_delay_alu instid0(VALU_DEP_2) | instskip(NEXT) | instid1(VALU_DEP_1)
	v_cndmask_b32_e64 v5, v5, v9, s9
	v_fma_f32 v7, v5, v7, v3
	s_delay_alu instid0(VALU_DEP_1) | instskip(SKIP_1) | instid1(VALU_DEP_1)
	v_cndmask_b32_e64 v3, v3, v7, s10
	v_mov_b32_dpp v9, v5 row_shr:4 row_mask:0xf bank_mask:0xf
	v_mul_f32_e32 v9, v5, v9
	s_delay_alu instid0(VALU_DEP_3) | instskip(NEXT) | instid1(VALU_DEP_2)
	v_mov_b32_dpp v7, v3 row_shr:8 row_mask:0xf bank_mask:0xf
	v_cndmask_b32_e64 v5, v5, v9, s10
	s_delay_alu instid0(VALU_DEP_1) | instskip(NEXT) | instid1(VALU_DEP_1)
	v_fma_f32 v7, v5, v7, v3
	v_cndmask_b32_e64 v7, v3, v7, s11
	v_mov_b32_dpp v9, v5 row_shr:8 row_mask:0xf bank_mask:0xf
	ds_swizzle_b32 v3, v7 offset:swizzle(BROADCAST,32,15)
	v_mul_f32_e32 v9, v5, v9
	s_delay_alu instid0(VALU_DEP_1) | instskip(SKIP_1) | instid1(VALU_DEP_1)
	v_cndmask_b32_e64 v9, v5, v9, s11
	s_wait_dscnt 0x0
	v_fma_f32 v20, v9, v3, v7
	s_delay_alu instid0(VALU_DEP_1) | instskip(SKIP_3) | instid1(VALU_DEP_1)
	v_cndmask_b32_e64 v3, v20, v7, s12
	ds_swizzle_b32 v5, v9 offset:swizzle(BROADCAST,32,15)
	s_wait_dscnt 0x0
	v_mul_f32_e32 v23, v9, v5
	v_cndmask_b32_e64 v5, v23, v9, s12
	s_and_saveexec_b32 s29, s13
; %bb.42:                               ;   in Loop: Header=BB4_20 Depth=1
	v_dual_cndmask_b32 v7, v20, v7, s12 :: v_dual_cndmask_b32 v9, v23, v9, s12
	ds_store_2addr_b32 v36, v9, v7 offset1:1
; %bb.43:                               ;   in Loop: Header=BB4_20 Depth=1
	s_or_b32 exec_lo, exec_lo, s29
	s_wait_dscnt 0x0
	s_barrier_signal -1
	s_barrier_wait -1
	s_and_saveexec_b32 s29, s14
	s_cbranch_execz .LBB4_45
; %bb.44:                               ;   in Loop: Header=BB4_20 Depth=1
	ds_load_2addr_b32 v[32:33], v42 offset1:1
	s_wait_dscnt 0x0
	v_mov_b32_dpp v7, v32 row_shr:1 row_mask:0xf bank_mask:0xf
	v_mov_b32_dpp v9, v33 row_shr:1 row_mask:0xf bank_mask:0xf
	s_delay_alu instid0(VALU_DEP_1) | instskip(NEXT) | instid1(VALU_DEP_1)
	v_dual_mul_f32 v7, v32, v7 :: v_dual_fma_f32 v9, v32, v9, v33
	v_dual_cndmask_b32 v7, v7, v32, s16 :: v_dual_cndmask_b32 v9, v9, v33, s16
	s_delay_alu instid0(VALU_DEP_1) | instskip(NEXT) | instid1(VALU_DEP_2)
	v_mov_b32_dpp v20, v7 row_shr:2 row_mask:0xf bank_mask:0xf
	v_mov_b32_dpp v23, v9 row_shr:2 row_mask:0xf bank_mask:0xf
	s_delay_alu instid0(VALU_DEP_1) | instskip(NEXT) | instid1(VALU_DEP_1)
	v_dual_mul_f32 v20, v7, v20 :: v_dual_fma_f32 v23, v7, v23, v9
	v_dual_cndmask_b32 v7, v7, v20, s17 :: v_dual_cndmask_b32 v9, v9, v23, s17
	ds_store_2addr_b32 v42, v7, v9 offset1:1
.LBB4_45:                               ;   in Loop: Header=BB4_20 Depth=1
	s_or_b32 exec_lo, exec_lo, s29
	s_wait_dscnt 0x0
	s_barrier_signal -1
	s_barrier_wait -1
                                        ; implicit-def: $vgpr32
	s_and_saveexec_b32 s29, s15
	s_cbranch_execz .LBB4_47
; %bb.46:                               ;   in Loop: Header=BB4_20 Depth=1
	ds_load_2addr_b32 v[32:33], v37 offset1:1
	s_wait_dscnt 0x0
	v_dual_mul_f32 v7, v5, v32 :: v_dual_fmac_f32 v3, v5, v33
	s_delay_alu instid0(VALU_DEP_1)
	v_mov_b32_e32 v5, v7
.LBB4_47:                               ;   in Loop: Header=BB4_20 Depth=1
	s_or_b32 exec_lo, exec_lo, s29
	ds_bpermute_b32 v5, v35, v5
	ds_bpermute_b32 v7, v35, v3
	v_mov_b32_e32 v3, v44
	s_and_saveexec_b32 s29, s2
	s_delay_alu instid0(SALU_CYCLE_1)
	s_xor_b32 s29, exec_lo, s29
	s_cbranch_execz .LBB4_49
; %bb.48:                               ;   in Loop: Header=BB4_20 Depth=1
	s_wait_dscnt 0x0
	v_dual_cndmask_b32 v3, v7, v33, s0 :: v_dual_mov_b32 v6, v18
	v_mov_b32_e32 v7, v26
	;;#ASMSTART
	;;#ASMEND
                                        ; implicit-def: $vgpr30_vgpr31
                                        ; implicit-def: $vgpr20_vgpr21
                                        ; implicit-def: $vgpr22_vgpr23
	s_delay_alu instid0(VALU_DEP_2) | instskip(NEXT) | instid1(VALU_DEP_1)
	v_dual_fmac_f32 v44, v2, v3 :: v_dual_cndmask_b32 v3, v5, v32, s0
	v_dual_fmac_f32 v19, v44, v18 :: v_dual_mul_f32 v2, v2, v3
	s_delay_alu instid0(VALU_DEP_1) | instskip(NEXT) | instid1(VALU_DEP_1)
	v_dual_mov_b32 v3, v19 :: v_dual_mov_b32 v5, v19
	v_pk_fma_f32 v[6:7], v[2:3], v[6:7], v[28:29]
	s_delay_alu instid0(VALU_DEP_1) | instskip(NEXT) | instid1(VALU_DEP_1)
	v_dual_mul_f32 v4, v2, v18 :: v_dual_fmac_f32 v25, v7, v24
	v_mul_f32_e32 v6, v4, v26
	s_delay_alu instid0(VALU_DEP_2) | instskip(NEXT) | instid1(VALU_DEP_2)
	v_dual_mov_b32 v3, v44 :: v_dual_mov_b32 v9, v25
	v_mul_f32_e32 v8, v6, v24
.LBB4_49:                               ;   in Loop: Header=BB4_20 Depth=1
	s_and_not1_saveexec_b32 s29, s29
	s_cbranch_execz .LBB4_51
; %bb.50:                               ;   in Loop: Header=BB4_20 Depth=1
	s_wait_dscnt 0x1
	v_dual_mov_b32 v9, v31 :: v_dual_mov_b32 v5, v21
	s_wait_dscnt 0x0
	v_mov_b32_e32 v7, v22
.LBB4_51:                               ;   in Loop: Header=BB4_20 Depth=1
	s_or_b32 exec_lo, exec_lo, s29
	v_add_nc_u32_e32 v18, 0x4000, v43
	v_add_nc_u32_e32 v19, 0x4008, v43
	s_wait_dscnt 0x1
	scratch_store_b128 off, v[2:5], off
	s_wait_dscnt 0x0
	scratch_store_b128 off, v[6:9], off offset:16
	s_wait_storecnt 0x0
	s_barrier_signal -1
	s_barrier_wait -1
	ds_load_2addr_b32 v[20:21], v18 offset1:1
	ds_load_2addr_b32 v[18:19], v19 offset1:1
	s_wait_xcnt 0x0
	s_and_saveexec_b32 s29, s18
	s_cbranch_execz .LBB4_19
; %bb.52:                               ;   in Loop: Header=BB4_20 Depth=1
	scratch_load_b64 v[22:23], v38, off
	s_add_co_i32 s51, s34, s28
	s_wait_loadcnt 0x0
	v_dual_mov_b32 v24, s51 :: v_dual_mul_f32 v16, v16, v22
	v_fmac_f32_e32 v23, v17, v22
	v_add_nc_u32_e64 v22, 0x9000, s27
	s_clause 0x1
	global_store_b32 v24, v16, s[40:41] scale_offset
	global_store_b32 v24, v23, s[42:43] scale_offset
	ds_store_2addr_b32 v22, v16, v23 offset0:8 offset1:16
	s_branch .LBB4_19
.LBB4_53:                               ;   in Loop: Header=BB4_20 Depth=1
                                        ; implicit-def: $sgpr52_sgpr53
                                        ; implicit-def: $vgpr2
	s_branch .LBB4_23
.LBB4_54:
	v_lshlrev_b64_e32 v[2:3], 2, v[10:11]
	s_add_nc_u64 s[0:1], s[30:31], s[48:49]
	s_add_nc_u64 s[10:11], s[38:39], s[48:49]
	;; [unrolled: 1-line block ×4, first 2 shown]
	s_and_saveexec_b32 s7, s4
	s_cbranch_execnz .LBB4_62
; %bb.55:
	s_or_b32 exec_lo, exec_lo, s7
	s_and_saveexec_b32 s4, s5
	s_cbranch_execnz .LBB4_63
.LBB4_56:
	s_or_b32 exec_lo, exec_lo, s4
	s_and_saveexec_b32 s4, s6
	s_cbranch_execnz .LBB4_64
.LBB4_57:
	s_or_b32 exec_lo, exec_lo, s4
	s_and_saveexec_b32 s4, s8
	s_cbranch_execz .LBB4_59
.LBB4_58:
	v_add_nc_u64_e32 v[4:5], s[2:3], v[2:3]
	v_add_nc_u64_e32 v[2:3], s[0:1], v[2:3]
	global_load_b32 v1, v[4:5], off offset:12
	s_wait_loadcnt 0x0
	v_mul_f32_e32 v4, 0xbfb8aa3b, v1
	s_delay_alu instid0(VALU_DEP_1) | instskip(SKIP_1) | instid1(TRANS32_DEP_1)
	v_exp_f32_e32 v4, v4
	v_nop
	v_add_f32_e32 v4, 1.0, v4
	s_delay_alu instid0(VALU_DEP_1) | instskip(NEXT) | instid1(VALU_DEP_1)
	v_div_scale_f32 v5, null, v4, v4, v1
	v_rcp_f32_e32 v6, v5
	v_nop
	s_delay_alu instid0(TRANS32_DEP_1) | instskip(NEXT) | instid1(VALU_DEP_1)
	v_fma_f32 v7, -v5, v6, 1.0
	v_fmac_f32_e32 v6, v7, v6
	v_div_scale_f32 v7, vcc_lo, v1, v4, v1
	s_delay_alu instid0(VALU_DEP_1) | instskip(NEXT) | instid1(VALU_DEP_1)
	v_mul_f32_e32 v8, v7, v6
	v_fma_f32 v9, -v5, v8, v7
	s_delay_alu instid0(VALU_DEP_1) | instskip(NEXT) | instid1(VALU_DEP_1)
	v_fmac_f32_e32 v8, v9, v6
	v_fma_f32 v5, -v5, v8, v7
	s_delay_alu instid0(VALU_DEP_1) | instskip(NEXT) | instid1(VALU_DEP_1)
	v_div_fmas_f32 v5, v5, v6, v8
	v_div_fixup_f32 v1, v5, v4, v1
	s_delay_alu instid0(VALU_DEP_1)
	v_mul_f32_e32 v1, v13, v1
	global_store_b32 v[2:3], v1, off offset:12
.LBB4_59:
	s_wait_xcnt 0x0
	s_or_b32 exec_lo, exec_lo, s4
	s_add_co_i32 s19, s19, -1
	v_cmp_gt_u32_e32 vcc_lo, 8, v0
	s_cmp_eq_u32 s34, s19
	s_cselect_b32 s0, -1, 0
	s_delay_alu instid0(SALU_CYCLE_1) | instskip(NEXT) | instid1(SALU_CYCLE_1)
	s_and_b32 s0, s0, vcc_lo
	s_and_saveexec_b32 s1, s0
	s_cbranch_execz .LBB4_61
; %bb.60:
	v_lshl_add_u32 v1, v0, 2, 0
	v_add_nc_u32_e32 v0, s33, v0
	ds_load_b32 v1, v1 offset:36928
	s_wait_dscnt 0x0
	global_store_b32 v0, v1, s[36:37] scale_offset
.LBB4_61:
	s_endpgm
.LBB4_62:
	v_add_nc_u64_e32 v[4:5], s[2:3], v[2:3]
	global_load_b32 v1, v[4:5], off
	s_wait_loadcnt 0x0
	v_mul_f32_e32 v4, 0xbfb8aa3b, v1
	s_delay_alu instid0(VALU_DEP_1) | instskip(SKIP_1) | instid1(TRANS32_DEP_1)
	v_exp_f32_e32 v4, v4
	v_nop
	v_add_f32_e32 v4, 1.0, v4
	s_delay_alu instid0(VALU_DEP_1) | instskip(NEXT) | instid1(VALU_DEP_1)
	v_div_scale_f32 v5, null, v4, v4, v1
	v_rcp_f32_e32 v6, v5
	v_nop
	s_delay_alu instid0(TRANS32_DEP_1) | instskip(NEXT) | instid1(VALU_DEP_1)
	v_fma_f32 v7, -v5, v6, 1.0
	v_fmac_f32_e32 v6, v7, v6
	v_div_scale_f32 v7, vcc_lo, v1, v4, v1
	s_delay_alu instid0(VALU_DEP_1) | instskip(NEXT) | instid1(VALU_DEP_1)
	v_mul_f32_e32 v8, v7, v6
	v_fma_f32 v9, -v5, v8, v7
	s_delay_alu instid0(VALU_DEP_1) | instskip(NEXT) | instid1(VALU_DEP_1)
	v_fmac_f32_e32 v8, v9, v6
	v_fma_f32 v5, -v5, v8, v7
	s_delay_alu instid0(VALU_DEP_1) | instskip(NEXT) | instid1(VALU_DEP_1)
	v_div_fmas_f32 v5, v5, v6, v8
	v_div_fixup_f32 v1, v5, v4, v1
	v_add_nc_u64_e32 v[4:5], s[0:1], v[2:3]
	s_delay_alu instid0(VALU_DEP_2)
	v_mul_f32_e32 v1, v14, v1
	global_store_b32 v[4:5], v1, off
	s_wait_xcnt 0x0
	s_or_b32 exec_lo, exec_lo, s7
	s_and_saveexec_b32 s4, s5
	s_cbranch_execz .LBB4_56
.LBB4_63:
	v_add_nc_u64_e32 v[4:5], s[2:3], v[2:3]
	global_load_b32 v1, v[4:5], off offset:4
	s_wait_loadcnt 0x0
	v_mul_f32_e32 v4, 0xbfb8aa3b, v1
	s_delay_alu instid0(VALU_DEP_1) | instskip(SKIP_1) | instid1(TRANS32_DEP_1)
	v_exp_f32_e32 v4, v4
	v_nop
	v_add_f32_e32 v4, 1.0, v4
	s_delay_alu instid0(VALU_DEP_1) | instskip(NEXT) | instid1(VALU_DEP_1)
	v_div_scale_f32 v5, null, v4, v4, v1
	v_rcp_f32_e32 v6, v5
	v_nop
	s_delay_alu instid0(TRANS32_DEP_1) | instskip(NEXT) | instid1(VALU_DEP_1)
	v_fma_f32 v7, -v5, v6, 1.0
	v_fmac_f32_e32 v6, v7, v6
	v_div_scale_f32 v7, vcc_lo, v1, v4, v1
	s_delay_alu instid0(VALU_DEP_1) | instskip(NEXT) | instid1(VALU_DEP_1)
	v_mul_f32_e32 v8, v7, v6
	v_fma_f32 v9, -v5, v8, v7
	s_delay_alu instid0(VALU_DEP_1) | instskip(NEXT) | instid1(VALU_DEP_1)
	v_fmac_f32_e32 v8, v9, v6
	v_fma_f32 v5, -v5, v8, v7
	s_delay_alu instid0(VALU_DEP_1) | instskip(NEXT) | instid1(VALU_DEP_1)
	v_div_fmas_f32 v5, v5, v6, v8
	v_div_fixup_f32 v1, v5, v4, v1
	v_add_nc_u64_e32 v[4:5], s[0:1], v[2:3]
	s_delay_alu instid0(VALU_DEP_2)
	v_mul_f32_e32 v1, v15, v1
	global_store_b32 v[4:5], v1, off offset:4
	s_wait_xcnt 0x0
	s_or_b32 exec_lo, exec_lo, s4
	s_and_saveexec_b32 s4, s6
	s_cbranch_execz .LBB4_57
.LBB4_64:
	v_add_nc_u64_e32 v[4:5], s[2:3], v[2:3]
	global_load_b32 v1, v[4:5], off offset:8
	s_wait_loadcnt 0x0
	v_mul_f32_e32 v4, 0xbfb8aa3b, v1
	s_delay_alu instid0(VALU_DEP_1) | instskip(SKIP_1) | instid1(TRANS32_DEP_1)
	v_exp_f32_e32 v4, v4
	v_nop
	v_add_f32_e32 v4, 1.0, v4
	s_delay_alu instid0(VALU_DEP_1) | instskip(NEXT) | instid1(VALU_DEP_1)
	v_div_scale_f32 v5, null, v4, v4, v1
	v_rcp_f32_e32 v6, v5
	v_nop
	s_delay_alu instid0(TRANS32_DEP_1) | instskip(NEXT) | instid1(VALU_DEP_1)
	v_fma_f32 v7, -v5, v6, 1.0
	v_fmac_f32_e32 v6, v7, v6
	v_div_scale_f32 v7, vcc_lo, v1, v4, v1
	s_delay_alu instid0(VALU_DEP_1) | instskip(NEXT) | instid1(VALU_DEP_1)
	v_mul_f32_e32 v8, v7, v6
	v_fma_f32 v9, -v5, v8, v7
	s_delay_alu instid0(VALU_DEP_1) | instskip(NEXT) | instid1(VALU_DEP_1)
	v_fmac_f32_e32 v8, v9, v6
	v_fma_f32 v5, -v5, v8, v7
	s_delay_alu instid0(VALU_DEP_1) | instskip(NEXT) | instid1(VALU_DEP_1)
	v_div_fmas_f32 v5, v5, v6, v8
	v_div_fixup_f32 v1, v5, v4, v1
	v_add_nc_u64_e32 v[4:5], s[0:1], v[2:3]
	s_delay_alu instid0(VALU_DEP_2)
	v_mul_f32_e32 v1, v12, v1
	global_store_b32 v[4:5], v1, off offset:8
	s_wait_xcnt 0x0
	s_or_b32 exec_lo, exec_lo, s4
	s_and_saveexec_b32 s4, s8
	s_cbranch_execnz .LBB4_58
	s_branch .LBB4_59
	.section	.rodata,"a",@progbits
	.p2align	6, 0x0
	.amdhsa_kernel _Z26selective_scan_vllm_kernelI18SSMFwdKernelTraitsILi128ELi4ELi8ELb1ELb0ELb0EEEv13SSMParamsBase
		.amdhsa_group_segment_fixed_size 0
		.amdhsa_private_segment_fixed_size 48
		.amdhsa_kernarg_size 144
		.amdhsa_user_sgpr_count 2
		.amdhsa_user_sgpr_dispatch_ptr 0
		.amdhsa_user_sgpr_queue_ptr 0
		.amdhsa_user_sgpr_kernarg_segment_ptr 1
		.amdhsa_user_sgpr_dispatch_id 0
		.amdhsa_user_sgpr_kernarg_preload_length 0
		.amdhsa_user_sgpr_kernarg_preload_offset 0
		.amdhsa_user_sgpr_private_segment_size 0
		.amdhsa_wavefront_size32 1
		.amdhsa_uses_dynamic_stack 0
		.amdhsa_enable_private_segment 1
		.amdhsa_system_sgpr_workgroup_id_x 1
		.amdhsa_system_sgpr_workgroup_id_y 1
		.amdhsa_system_sgpr_workgroup_id_z 0
		.amdhsa_system_sgpr_workgroup_info 0
		.amdhsa_system_vgpr_workitem_id 0
		.amdhsa_next_free_vgpr 45
		.amdhsa_next_free_sgpr 58
		.amdhsa_named_barrier_count 0
		.amdhsa_reserve_vcc 1
		.amdhsa_float_round_mode_32 0
		.amdhsa_float_round_mode_16_64 0
		.amdhsa_float_denorm_mode_32 3
		.amdhsa_float_denorm_mode_16_64 3
		.amdhsa_fp16_overflow 0
		.amdhsa_memory_ordered 1
		.amdhsa_forward_progress 1
		.amdhsa_inst_pref_size 32
		.amdhsa_round_robin_scheduling 0
		.amdhsa_exception_fp_ieee_invalid_op 0
		.amdhsa_exception_fp_denorm_src 0
		.amdhsa_exception_fp_ieee_div_zero 0
		.amdhsa_exception_fp_ieee_overflow 0
		.amdhsa_exception_fp_ieee_underflow 0
		.amdhsa_exception_fp_ieee_inexact 0
		.amdhsa_exception_int_div_zero 0
	.end_amdhsa_kernel
	.section	.text._Z26selective_scan_vllm_kernelI18SSMFwdKernelTraitsILi128ELi4ELi8ELb1ELb0ELb0EEEv13SSMParamsBase,"axG",@progbits,_Z26selective_scan_vllm_kernelI18SSMFwdKernelTraitsILi128ELi4ELi8ELb1ELb0ELb0EEEv13SSMParamsBase,comdat
.Lfunc_end4:
	.size	_Z26selective_scan_vllm_kernelI18SSMFwdKernelTraitsILi128ELi4ELi8ELb1ELb0ELb0EEEv13SSMParamsBase, .Lfunc_end4-_Z26selective_scan_vllm_kernelI18SSMFwdKernelTraitsILi128ELi4ELi8ELb1ELb0ELb0EEEv13SSMParamsBase
                                        ; -- End function
	.set _Z26selective_scan_vllm_kernelI18SSMFwdKernelTraitsILi128ELi4ELi8ELb1ELb0ELb0EEEv13SSMParamsBase.num_vgpr, 45
	.set _Z26selective_scan_vllm_kernelI18SSMFwdKernelTraitsILi128ELi4ELi8ELb1ELb0ELb0EEEv13SSMParamsBase.num_agpr, 0
	.set _Z26selective_scan_vllm_kernelI18SSMFwdKernelTraitsILi128ELi4ELi8ELb1ELb0ELb0EEEv13SSMParamsBase.numbered_sgpr, 58
	.set _Z26selective_scan_vllm_kernelI18SSMFwdKernelTraitsILi128ELi4ELi8ELb1ELb0ELb0EEEv13SSMParamsBase.num_named_barrier, 0
	.set _Z26selective_scan_vllm_kernelI18SSMFwdKernelTraitsILi128ELi4ELi8ELb1ELb0ELb0EEEv13SSMParamsBase.private_seg_size, 48
	.set _Z26selective_scan_vllm_kernelI18SSMFwdKernelTraitsILi128ELi4ELi8ELb1ELb0ELb0EEEv13SSMParamsBase.uses_vcc, 1
	.set _Z26selective_scan_vllm_kernelI18SSMFwdKernelTraitsILi128ELi4ELi8ELb1ELb0ELb0EEEv13SSMParamsBase.uses_flat_scratch, 0
	.set _Z26selective_scan_vllm_kernelI18SSMFwdKernelTraitsILi128ELi4ELi8ELb1ELb0ELb0EEEv13SSMParamsBase.has_dyn_sized_stack, 0
	.set _Z26selective_scan_vllm_kernelI18SSMFwdKernelTraitsILi128ELi4ELi8ELb1ELb0ELb0EEEv13SSMParamsBase.has_recursion, 0
	.set _Z26selective_scan_vllm_kernelI18SSMFwdKernelTraitsILi128ELi4ELi8ELb1ELb0ELb0EEEv13SSMParamsBase.has_indirect_call, 0
	.section	.AMDGPU.csdata,"",@progbits
; Kernel info:
; codeLenInByte = 4064
; TotalNumSgprs: 60
; NumVgprs: 45
; ScratchSize: 48
; MemoryBound: 0
; FloatMode: 240
; IeeeMode: 1
; LDSByteSize: 0 bytes/workgroup (compile time only)
; SGPRBlocks: 0
; VGPRBlocks: 2
; NumSGPRsForWavesPerEU: 60
; NumVGPRsForWavesPerEU: 45
; NamedBarCnt: 0
; Occupancy: 16
; WaveLimiterHint : 0
; COMPUTE_PGM_RSRC2:SCRATCH_EN: 1
; COMPUTE_PGM_RSRC2:USER_SGPR: 2
; COMPUTE_PGM_RSRC2:TRAP_HANDLER: 0
; COMPUTE_PGM_RSRC2:TGID_X_EN: 1
; COMPUTE_PGM_RSRC2:TGID_Y_EN: 1
; COMPUTE_PGM_RSRC2:TGID_Z_EN: 0
; COMPUTE_PGM_RSRC2:TIDIG_COMP_CNT: 0
	.section	.text._Z26selective_scan_vllm_kernelI18SSMFwdKernelTraitsILi128ELi4ELi8ELb0ELb1ELb1EEEv13SSMParamsBase,"axG",@progbits,_Z26selective_scan_vllm_kernelI18SSMFwdKernelTraitsILi128ELi4ELi8ELb0ELb1ELb1EEEv13SSMParamsBase,comdat
	.protected	_Z26selective_scan_vllm_kernelI18SSMFwdKernelTraitsILi128ELi4ELi8ELb0ELb1ELb1EEEv13SSMParamsBase ; -- Begin function _Z26selective_scan_vllm_kernelI18SSMFwdKernelTraitsILi128ELi4ELi8ELb0ELb1ELb1EEEv13SSMParamsBase
	.globl	_Z26selective_scan_vllm_kernelI18SSMFwdKernelTraitsILi128ELi4ELi8ELb0ELb1ELb1EEEv13SSMParamsBase
	.p2align	8
	.type	_Z26selective_scan_vllm_kernelI18SSMFwdKernelTraitsILi128ELi4ELi8ELb0ELb1ELb1EEEv13SSMParamsBase,@function
_Z26selective_scan_vllm_kernelI18SSMFwdKernelTraitsILi128ELi4ELi8ELb0ELb1ELb1EEEv13SSMParamsBase: ; @_Z26selective_scan_vllm_kernelI18SSMFwdKernelTraitsILi128ELi4ELi8ELb0ELb1ELb1EEEv13SSMParamsBase
; %bb.0:
	s_clause 0x1
	s_load_b32 s6, s[0:1], 0x4
	s_load_b32 s33, s[0:1], 0x10
	s_bfe_u32 s2, ttmp6, 0x4000c
	s_and_b32 s3, ttmp6, 15
	s_add_co_i32 s2, s2, 1
	s_getreg_b32 s9, hwreg(HW_REG_IB_STS2, 6, 4)
	s_mul_i32 s2, ttmp9, s2
	s_mov_b32 s15, 0
	s_add_co_i32 s3, s3, s2
	s_cmp_eq_u32 s9, 0
	s_cselect_b32 s7, ttmp9, s3
	s_delay_alu instid0(SALU_CYCLE_1)
	s_abs_i32 s14, s7
	s_ashr_i32 s10, s7, 31
	s_wait_kmcnt 0x0
	s_abs_i32 s8, s6
	s_ashr_i32 s11, s6, 31
	s_cvt_f32_u32 s2, s8
	s_sub_co_i32 s5, 0, s8
	s_delay_alu instid0(SALU_CYCLE_2)
	v_rcp_iflag_f32_e32 v1, s2
	s_clause 0x5
	s_load_b256 s[24:31], s[0:1], 0x18
	s_load_b128 s[36:39], s[0:1], 0x38
	s_load_b64 s[2:3], s[0:1], 0x48
	s_load_b256 s[16:23], s[0:1], 0x58
	s_load_b64 s[46:47], s[0:1], 0x88
	s_load_b128 s[40:43], s[0:1], 0x78
	s_wait_xcnt 0x0
	v_cmp_eq_u32_e64 s1, 0, v0
	v_readfirstlane_b32 s4, v1
	s_mul_f32 s0, s4, 0x4f7ffffe
	s_delay_alu instid0(SALU_CYCLE_3) | instskip(SKIP_1) | instid1(SALU_CYCLE_2)
	s_cvt_u32_f32 s4, s0
	v_cmp_ne_u32_e64 s0, 0, v0
	s_mul_i32 s5, s5, s4
	s_delay_alu instid0(SALU_CYCLE_1) | instskip(NEXT) | instid1(SALU_CYCLE_1)
	s_mul_hi_u32 s5, s4, s5
	s_add_co_i32 s4, s4, s5
	s_mov_b32 s5, s15
	s_delay_alu instid0(SALU_CYCLE_1)
	s_mul_u64 s[4:5], s[14:15], s[4:5]
	s_and_saveexec_b32 s4, s1
; %bb.1:
	v_mov_b64_e32 v[2:3], 0x30000007f
	v_mov_b32_e32 v1, 0
	ds_store_b64 v1, v[2:3] offset:36960
; %bb.2:
	s_or_b32 exec_lo, exec_lo, s4
	s_bfe_u32 s4, ttmp6, 0x40010
	s_bfe_u32 s12, ttmp6, 0x40004
	s_add_co_i32 s4, s4, 1
	v_lshlrev_b32_e32 v14, 2, v0
	s_mul_i32 s4, ttmp7, s4
	s_wait_dscnt 0x0
	s_add_co_i32 s12, s12, s4
	s_cmp_eq_u32 s9, 0
	s_mul_i32 s4, s5, s8
	s_cselect_b32 s34, ttmp7, s12
	s_sub_co_i32 s4, s14, s4
	s_xor_b32 s9, s10, s11
	s_add_co_i32 s10, s5, 1
	s_sub_co_i32 s11, s4, s8
	s_cmp_ge_u32 s4, s8
	s_barrier_signal -1
	s_cselect_b32 s5, s10, s5
	s_cselect_b32 s4, s11, s4
	s_add_co_i32 s10, s5, 1
	s_cmp_ge_u32 s4, s8
	s_barrier_wait -1
	s_cselect_b32 s4, s10, s5
	s_lshl_b32 s35, s34, 9
	s_xor_b32 s4, s4, s9
	v_dual_mov_b32 v1, 0 :: v_dual_bitop2_b32 v6, s35, v14 bitop3:0x54
	s_sub_co_i32 s48, s4, s9
	s_delay_alu instid0(SALU_CYCLE_1)
	s_mul_i32 s6, s48, s6
	s_wait_kmcnt 0x0
	s_mul_i32 s4, s48, s40
	v_ashrrev_i32_e32 v7, 31, v6
	s_ashr_i32 s5, s4, 31
	s_sub_co_i32 s40, s7, s6
	s_lshl_b64 s[44:45], s[4:5], 2
	s_mul_i32 s4, s40, s41
	v_lshlrev_b64_e32 v[8:9], 2, v[6:7]
	s_ashr_i32 s5, s4, 31
	s_add_nc_u64 s[8:9], s[26:27], s[44:45]
	s_lshl_b64 s[26:27], s[4:5], 2
	s_ashr_i32 s41, s40, 31
	s_add_nc_u64 s[4:5], s[8:9], s[26:27]
	v_lshl_add_u32 v30, v0, 4, 0
	v_add_nc_u64_e32 v[2:3], s[4:5], v[8:9]
	s_add_nc_u64 s[4:5], s[24:25], s[44:45]
	s_lshl_b64 s[24:25], s[40:41], 2
	s_add_nc_u64 s[4:5], s[4:5], s[26:27]
	s_add_nc_u64 s[2:3], s[2:3], s[24:25]
	v_add_nc_u64_e32 v[8:9], s[4:5], v[8:9]
	s_load_b32 s6, s[2:3], 0x0
	global_load_b128 v[2:5], v[2:3], off
	v_dual_lshrrev_b32 v17, 2, v0 :: v_dual_bitop2_b32 v16, 31, v0 bitop3:0x54
	v_mbcnt_lo_u32_b32 v15, -1, 0
	v_lshlrev_b32_e32 v18, 3, v0
	global_load_b128 v[8:11], v[8:9], off
	s_mul_i32 s41, s7, s33
	v_cmp_eq_u32_e64 s4, v0, v16
	v_and_b32_e32 v19, 15, v15
	v_dual_sub_nc_u32 v18, 0, v18 :: v_dual_bitop2_b32 v20, 16, v15 bitop3:0x40
	v_sub_co_u32 v16, s5, v15, 1
	s_delay_alu instid0(VALU_DEP_3) | instskip(SKIP_1) | instid1(VALU_DEP_4)
	v_cmp_lt_u32_e64 s8, 3, v19
	v_cmp_lt_u32_e64 s9, 7, v19
	v_cmp_eq_u32_e64 s10, 0, v20
	s_delay_alu instid0(VALU_DEP_4)
	v_cmp_gt_i32_e64 s14, 0, v16
	ds_load_b64 v[12:13], v1 offset:36960
	v_cmp_gt_u32_e64 s2, 4, v0
	v_cmp_lt_u32_e64 s3, 31, v0
	v_add_nc_u32_e32 v38, v30, v18
	s_wait_loadcnt 0x1
	s_wait_kmcnt 0x0
	v_pk_add_f32 v[2:3], v[2:3], s[6:7] op_sel_hi:[1,0]
	v_pk_add_f32 v[4:5], v[4:5], s[6:7] op_sel_hi:[1,0]
	v_cmp_eq_u32_e64 s6, 0, v19
	v_cmp_lt_u32_e64 s7, 1, v19
	s_delay_alu instid0(VALU_DEP_3) | instskip(SKIP_2) | instid1(VALU_DEP_3)
	v_dual_mul_f32 v21, 0x3fb8aa3b, v2 :: v_dual_mul_f32 v24, 0x3fb8aa3b, v4
	v_mul_f32_e32 v23, 0x3fb8aa3b, v3
	v_mul_f32_e32 v25, 0x3fb8aa3b, v5
	v_exp_f32_e32 v21, v21
	v_add_nc_u32_e32 v32, 0x828, v30
	s_delay_alu instid0(VALU_DEP_3)
	v_exp_f32_e32 v23, v23
	v_and_b32_e32 v17, 24, v17
	v_exp_f32_e32 v24, v24
	v_exp_f32_e32 v25, v25
	v_add_nc_u32_e32 v31, 0x820, v30
	v_dual_add_f32 v21, 1.0, v21 :: v_dual_bitop2_b32 v22, 3, v15 bitop3:0x40
	s_delay_alu instid0(TRANS32_DEP_2) | instskip(NEXT) | instid1(VALU_DEP_2)
	v_dual_add_f32 v23, 1.0, v23 :: v_dual_add_f32 v24, 1.0, v24
	v_cmp_gt_f32_e32 vcc_lo, 0x800000, v21
	s_delay_alu instid0(TRANS32_DEP_1) | instskip(NEXT) | instid1(VALU_DEP_3)
	v_add_f32_e32 v25, 1.0, v25
	v_cmp_gt_f32_e64 s11, 0x800000, v23
	s_delay_alu instid0(VALU_DEP_4) | instskip(SKIP_1) | instid1(VALU_DEP_4)
	v_cmp_gt_f32_e64 s12, 0x800000, v24
	v_cndmask_b32_e64 v26, 0, 32, vcc_lo
	v_cmp_gt_f32_e64 s13, 0x800000, v25
	s_delay_alu instid0(VALU_DEP_4) | instskip(NEXT) | instid1(VALU_DEP_4)
	v_cndmask_b32_e64 v27, 0, 32, s11
	v_cndmask_b32_e64 v28, 0, 32, s12
	s_delay_alu instid0(VALU_DEP_4) | instskip(NEXT) | instid1(VALU_DEP_4)
	v_ldexp_f32 v19, v21, v26
	v_cndmask_b32_e64 v29, 0, 32, s13
	s_delay_alu instid0(VALU_DEP_4)
	v_ldexp_f32 v21, v23, v27
	v_cndmask_b32_e64 v35, 0, 0x41b17218, s13
	v_ldexp_f32 v23, v24, v28
	v_log_f32_e32 v19, v19
	v_ldexp_f32 v24, v25, v29
	v_log_f32_e32 v20, v21
	v_cndmask_b32_e64 v28, 0, 0x41b17218, s11
	v_log_f32_e32 v21, v23
	v_cndmask_b32_e64 v29, 0, 0x41b17218, s12
	v_log_f32_e32 v23, v24
	v_nop
	v_mul_f32_e32 v24, 0x3f317217, v19
	s_add_nc_u64 s[12:13], s[38:39], s[24:25]
	v_mul_f32_e32 v25, 0x3f317217, v20
	v_cmp_eq_u32_e64 s11, 0, v22
	v_mul_f32_e32 v26, 0x3f317217, v21
	v_fma_f32 v24, 0x3f317217, v19, -v24
	v_mul_f32_e32 v27, 0x3f317217, v23
	v_fma_f32 v25, 0x3f317217, v20, -v25
	s_delay_alu instid0(VALU_DEP_4) | instskip(NEXT) | instid1(VALU_DEP_4)
	v_fma_f32 v26, 0x3f317217, v21, -v26
	v_fmac_f32_e32 v24, 0x3377d1cf, v19
	s_delay_alu instid0(VALU_DEP_4) | instskip(NEXT) | instid1(VALU_DEP_3)
	v_fma_f32 v27, 0x3f317217, v23, -v27
	v_dual_fmac_f32 v25, 0x3377d1cf, v20 :: v_dual_fmac_f32 v26, 0x3377d1cf, v21
	s_delay_alu instid0(VALU_DEP_3) | instskip(NEXT) | instid1(VALU_DEP_3)
	v_fmac_f32_e32 v24, 0x3f317217, v19
	v_fmac_f32_e32 v27, 0x3377d1cf, v23
	s_delay_alu instid0(VALU_DEP_3)
	v_fmac_f32_e32 v25, 0x3f317217, v20
	v_cndmask_b32_e64 v15, v16, v15, s14
	v_cndmask_b32_e64 v16, 0, 0x41b17218, vcc_lo
	v_cmp_gt_f32_e64 vcc_lo, 0x7f800000, |v19|
	v_dual_fmac_f32 v26, 0x3f317217, v21 :: v_dual_fmac_f32 v27, 0x3f317217, v23
	s_mul_i32 s14, s48, s42
	s_mul_i32 s48, s48, s46
	v_cndmask_b32_e32 v19, v19, v24, vcc_lo
	v_cmp_gt_f32_e64 vcc_lo, 0x7f800000, |v20|
	s_lshl_b32 s46, s40, 3
	s_cmp_lg_u32 s34, 0
	v_dual_sub_f32 v16, v19, v16 :: v_dual_cndmask_b32 v20, v20, v25, vcc_lo
	v_cmp_gt_f32_e64 vcc_lo, 0x7f800000, |v21|
	v_add_nc_u32_e32 v34, 0, v17
	s_cselect_b32 s42, -1, 0
	s_lshl_b32 s24, s41, 3
	v_dual_sub_f32 v17, v20, v28 :: v_dual_cndmask_b32 v21, v21, v26, vcc_lo
	v_cmp_gt_f32_e64 vcc_lo, 0x7f800000, |v23|
	v_dual_cndmask_b32 v23, v23, v27 :: v_dual_add_nc_u32 v36, -8, v34
	v_cmp_lt_f32_e32 vcc_lo, 0x41a00000, v3
	s_delay_alu instid0(VALU_DEP_2)
	v_dual_sub_f32 v20, v23, v35 :: v_dual_add_nc_u32 v33, 0x1020, v30
	v_cndmask_b32_e32 v3, v17, v3, vcc_lo
	v_cmp_lt_f32_e32 vcc_lo, 0x41a00000, v2
	v_dual_sub_f32 v19, v21, v29 :: v_dual_lshlrev_b32 v35, 2, v15
	v_cndmask_b32_e32 v2, v16, v2, vcc_lo
	v_cmp_lt_f32_e32 vcc_lo, 0x41a00000, v5
	v_cndmask_b32_e32 v5, v20, v5, vcc_lo
	v_cmp_lt_f32_e32 vcc_lo, 0x41a00000, v4
	v_cndmask_b32_e32 v4, v19, v4, vcc_lo
	s_wait_loadcnt 0x0
	ds_store_2addr_b32 v30, v8, v9 offset0:8 offset1:9
	ds_store_2addr_b32 v31, v2, v3 offset1:1
	ds_store_2addr_b32 v30, v10, v11 offset0:10 offset1:11
	ds_store_2addr_b32 v32, v4, v5 offset1:1
	s_wait_dscnt 0x0
	s_barrier_signal -1
	s_barrier_wait -1
	s_load_b32 s38, s[12:13], 0x0
	ds_load_2addr_b32 v[2:3], v30 offset0:8 offset1:9
	ds_load_2addr_b32 v[4:5], v30 offset0:10 offset1:11
	v_lshlrev_b32_e32 v9, 3, v13
	v_add3_u32 v8, s14, s35, v14
	s_mul_i32 s14, s40, s47
	s_ashr_i32 s47, s46, 31
	s_wait_xcnt 0x0
	v_cmp_lt_u32_e64 s12, 1, v22
	v_cmp_eq_u32_e64 s13, v0, v12
	v_mov_b32_e32 v37, v9
	s_add_co_i32 s14, s14, s48
	s_lshl_b64 s[40:41], s[46:47], 2
	s_ashr_i32 s35, s34, 31
	s_add_nc_u64 s[28:29], s[28:29], s[40:41]
	s_mov_b32 s46, 0
	s_wait_dscnt 0x1
	s_wait_kmcnt 0x0
	v_pk_mul_f32 v[2:3], s[38:39], v[2:3] op_sel_hi:[0,1]
	s_wait_dscnt 0x0
	v_pk_mul_f32 v[4:5], s[38:39], v[4:5] op_sel_hi:[0,1]
	s_mov_b32 s38, s14
	s_branch .LBB5_4
.LBB5_3:                                ;   in Loop: Header=BB5_4 Depth=1
	s_wait_xcnt 0x0
	s_or_b32 exec_lo, exec_lo, s25
	v_dual_mov_b32 v18, v19 :: v_dual_add_nc_u32 v8, s43, v8
	s_addk_co_i32 s46, 0x800
	s_add_co_i32 s15, s15, 4
	s_add_co_i32 s38, s38, 1
	s_delay_alu instid0(VALU_DEP_1)
	v_pk_fma_f32 v[10:11], v[18:19], v[12:13], v[10:11] op_sel_hi:[0,1,1]
	v_pk_fma_f32 v[12:13], v[18:19], v[14:15], v[16:17] op_sel_hi:[0,1,1]
	s_add_co_i32 s24, s24, s33
	s_cmp_eq_u32 s46, 0x4000
	s_add_nc_u64 s[28:29], s[28:29], 4
	s_wait_dscnt 0x1
	v_pk_fma_f32 v[2:3], v[20:21], v[10:11], v[2:3]
	s_wait_dscnt 0x0
	v_pk_fma_f32 v[4:5], v[22:23], v[12:13], v[4:5]
	s_wait_storecnt 0x0
	s_barrier_signal -1
	s_barrier_wait -1
	s_cbranch_scc1 .LBB5_22
.LBB5_4:                                ; =>This Inner Loop Header: Depth=1
	s_and_saveexec_b32 s47, s1
	s_cbranch_execz .LBB5_9
; %bb.5:                                ;   in Loop: Header=BB5_4 Depth=1
	s_and_b32 vcc_lo, exec_lo, s42
	s_cbranch_vccz .LBB5_21
; %bb.6:                                ;   in Loop: Header=BB5_4 Depth=1
	s_ashr_i32 s25, s24, 31
	s_delay_alu instid0(SALU_CYCLE_1) | instskip(NEXT) | instid1(SALU_CYCLE_1)
	s_add_nc_u64 s[40:41], s[34:35], s[24:25]
	s_lshl_b64 s[40:41], s[40:41], 2
	s_delay_alu instid0(SALU_CYCLE_1)
	s_add_nc_u64 s[48:49], s[20:21], s[40:41]
	s_add_nc_u64 s[40:41], s[22:23], s[40:41]
	global_load_b32 v9, v1, s[48:49] offset:-4
	s_add_nc_u64 s[40:41], s[40:41], -4
	s_cbranch_execnz .LBB5_8
.LBB5_7:                                ;   in Loop: Header=BB5_4 Depth=1
	s_ashr_i32 s39, s38, 31
	s_wait_loadcnt 0x0
	v_mov_b32_e32 v9, 1.0
	s_lshl_b64 s[40:41], s[38:39], 2
	s_delay_alu instid0(SALU_CYCLE_1)
	s_add_nc_u64 s[40:41], s[16:17], s[40:41]
.LBB5_8:                                ;   in Loop: Header=BB5_4 Depth=1
	global_load_b32 v10, v1, s[40:41]
	v_add_nc_u32_e64 v11, 0x9000, s15
	s_wait_loadcnt 0x0
	ds_store_2addr_b32 v11, v9, v10 offset0:8 offset1:16
.LBB5_9:                                ;   in Loop: Header=BB5_4 Depth=1
	s_or_b32 exec_lo, exec_lo, s47
	v_ashrrev_i32_e32 v9, 31, v8
	s_delay_alu instid0(VALU_DEP_1) | instskip(NEXT) | instid1(VALU_DEP_1)
	v_lshlrev_b64_e32 v[10:11], 2, v[8:9]
	v_add_nc_u64_e32 v[18:19], s[30:31], v[10:11]
	v_add_nc_u64_e32 v[20:21], s[36:37], v[10:11]
	global_load_b128 v[10:13], v[18:19], off
	global_load_b128 v[14:17], v[20:21], off
	s_wait_xcnt 0x1
	v_add_nc_u32_e32 v18, s46, v33
	s_delay_alu instid0(VALU_DEP_1)
	v_add_nc_u32_e32 v9, 0x4000, v18
	v_add_nc_u32_e32 v39, 0x4008, v18
	s_wait_loadcnt 0x1
	ds_store_2addr_b32 v18, v10, v11 offset1:1
	s_wait_loadcnt 0x0
	ds_store_2addr_b32 v9, v14, v15 offset1:1
	ds_store_2addr_b32 v18, v12, v13 offset0:2 offset1:3
	ds_store_2addr_b32 v39, v16, v17 offset1:1
	s_wait_dscnt 0x0
	s_barrier_signal -1
	s_barrier_wait -1
	global_load_b32 v19, v1, s[28:29]
	ds_load_2addr_b32 v[10:11], v18 offset1:1
	ds_load_2addr_b32 v[12:13], v31 offset1:1
	;; [unrolled: 1-line block ×3, first 2 shown]
	ds_load_2addr_b32 v[16:17], v30 offset0:8 offset1:9
	ds_load_2addr_b32 v[20:21], v18 offset0:2 offset1:3
	;; [unrolled: 1-line block ×3, first 2 shown]
	s_wait_dscnt 0x4
	v_pk_mul_f32 v[10:11], v[12:13], v[10:11]
	s_wait_dscnt 0x2
	s_delay_alu instid0(VALU_DEP_1) | instskip(SKIP_3) | instid1(VALU_DEP_2)
	v_pk_mul_f32 v[10:11], v[16:17], v[10:11]
	s_wait_loadcnt 0x0
	v_dual_mul_f32 v18, v13, v19 :: v_dual_mul_f32 v24, v14, v19
	v_dual_mul_f32 v16, v15, v19 :: v_dual_mul_f32 v12, v12, v19
	;; [unrolled: 1-line block ×3, first 2 shown]
	s_delay_alu instid0(VALU_DEP_2) | instskip(NEXT) | instid1(VALU_DEP_2)
	v_mul_f32_e32 v17, 0x3fb8aa3b, v12
	v_exp_f32_e32 v42, v18
	s_delay_alu instid0(VALU_DEP_2) | instskip(SKIP_3) | instid1(TRANS32_DEP_2)
	v_exp_f32_e32 v41, v13
	s_wait_dscnt 0x1
	v_nop
	v_mul_f32_e32 v13, v14, v20
	v_fma_f32 v40, v10, v42, v11
	s_wait_dscnt 0x0
	s_delay_alu instid0(VALU_DEP_2) | instskip(NEXT) | instid1(VALU_DEP_2)
	v_mul_f32_e32 v20, v22, v13
	v_mul_f32_e32 v14, v40, v41
	s_delay_alu instid0(VALU_DEP_1) | instskip(SKIP_2) | instid1(VALU_DEP_1)
	v_pk_mul_f32 v[12:13], v[14:15], v[20:21]
	v_exp_f32_e32 v12, v17
	v_mul_f32_e32 v16, 0x3fb8aa3b, v16
	v_exp_f32_e32 v22, v16
	v_nop
	v_pk_add_f32 v[16:17], v[14:15], v[20:21]
	s_delay_alu instid0(TRANS32_DEP_2)
	v_dual_mov_b32 v17, v13 :: v_dual_mul_f32 v13, v12, v42
	s_delay_alu instid0(TRANS32_DEP_1) | instid1(VALU_DEP_1)
	v_pk_mul_f32 v[26:27], v[16:17], v[22:23]
	s_delay_alu instid0(VALU_DEP_1) | instskip(NEXT) | instid1(VALU_DEP_1)
	v_dual_mul_f32 v14, v13, v41 :: v_dual_mov_b32 v18, v27
	v_pk_fma_f32 v[24:25], v[16:17], v[22:23], v[18:19]
	s_delay_alu instid0(VALU_DEP_2) | instskip(NEXT) | instid1(VALU_DEP_2)
	v_mul_f32_e32 v15, v14, v22
	v_mov_b32_dpp v17, v24 row_shr:1 row_mask:0xf bank_mask:0xf
	s_delay_alu instid0(VALU_DEP_1) | instskip(NEXT) | instid1(VALU_DEP_1)
	v_fma_f32 v17, v15, v17, v24
	v_cndmask_b32_e64 v17, v17, v24, s6
	v_mov_b32_dpp v18, v15 row_shr:1 row_mask:0xf bank_mask:0xf
	s_delay_alu instid0(VALU_DEP_2) | instskip(NEXT) | instid1(VALU_DEP_2)
	v_mov_b32_dpp v19, v17 row_shr:2 row_mask:0xf bank_mask:0xf
	v_mul_f32_e32 v18, v15, v18
	s_delay_alu instid0(VALU_DEP_1) | instskip(NEXT) | instid1(VALU_DEP_1)
	v_cndmask_b32_e64 v18, v18, v15, s6
	v_mov_b32_dpp v21, v18 row_shr:2 row_mask:0xf bank_mask:0xf
	s_delay_alu instid0(VALU_DEP_1) | instskip(NEXT) | instid1(VALU_DEP_1)
	v_dual_fma_f32 v19, v18, v19, v17 :: v_dual_mul_f32 v21, v18, v21
	v_dual_cndmask_b32 v17, v17, v19, s7 :: v_dual_cndmask_b32 v18, v18, v21, s7
	s_delay_alu instid0(VALU_DEP_1) | instskip(NEXT) | instid1(VALU_DEP_2)
	v_mov_b32_dpp v19, v17 row_shr:4 row_mask:0xf bank_mask:0xf
	v_mov_b32_dpp v21, v18 row_shr:4 row_mask:0xf bank_mask:0xf
	s_delay_alu instid0(VALU_DEP_1) | instskip(NEXT) | instid1(VALU_DEP_1)
	v_dual_fma_f32 v19, v18, v19, v17 :: v_dual_mul_f32 v21, v18, v21
	v_dual_cndmask_b32 v17, v17, v19, s8 :: v_dual_cndmask_b32 v18, v18, v21, s8
	s_delay_alu instid0(VALU_DEP_1) | instskip(NEXT) | instid1(VALU_DEP_2)
	v_mov_b32_dpp v19, v17 row_shr:8 row_mask:0xf bank_mask:0xf
	v_mov_b32_dpp v21, v18 row_shr:8 row_mask:0xf bank_mask:0xf
	s_delay_alu instid0(VALU_DEP_1) | instskip(NEXT) | instid1(VALU_DEP_1)
	v_dual_fma_f32 v19, v18, v19, v17 :: v_dual_mul_f32 v21, v18, v21
	v_dual_cndmask_b32 v23, v17, v19, s9 :: v_dual_cndmask_b32 v25, v18, v21, s9
	ds_swizzle_b32 v17, v23 offset:swizzle(BROADCAST,32,15)
	v_add_nc_u32_e64 v18, 0x9000, s15
	ds_swizzle_b32 v21, v25 offset:swizzle(BROADCAST,32,15)
	ds_load_2addr_b32 v[18:19], v18 offset0:8 offset1:16
	s_wait_dscnt 0x2
	v_fma_f32 v26, v25, v17, v23
	s_wait_dscnt 0x1
	s_delay_alu instid0(VALU_DEP_1) | instskip(NEXT) | instid1(VALU_DEP_1)
	v_dual_mul_f32 v28, v25, v21 :: v_dual_cndmask_b32 v17, v26, v23, s10
	v_cndmask_b32_e64 v21, v28, v25, s10
	s_and_saveexec_b32 s25, s4
; %bb.10:                               ;   in Loop: Header=BB5_4 Depth=1
	v_dual_cndmask_b32 v23, v26, v23, s10 :: v_dual_cndmask_b32 v25, v28, v25, s10
	ds_store_2addr_b32 v34, v25, v23 offset1:1
; %bb.11:                               ;   in Loop: Header=BB5_4 Depth=1
	s_or_b32 exec_lo, exec_lo, s25
	s_wait_dscnt 0x0
	s_barrier_signal -1
	s_barrier_wait -1
	s_and_saveexec_b32 s25, s2
	s_cbranch_execz .LBB5_13
; %bb.12:                               ;   in Loop: Header=BB5_4 Depth=1
	ds_load_2addr_b32 v[28:29], v38 offset1:1
	s_wait_dscnt 0x0
	v_mov_b32_dpp v23, v28 row_shr:1 row_mask:0xf bank_mask:0xf
	v_mov_b32_dpp v25, v29 row_shr:1 row_mask:0xf bank_mask:0xf
	s_delay_alu instid0(VALU_DEP_1) | instskip(NEXT) | instid1(VALU_DEP_1)
	v_dual_mul_f32 v23, v28, v23 :: v_dual_fma_f32 v25, v28, v25, v29
	v_dual_cndmask_b32 v23, v23, v28, s11 :: v_dual_cndmask_b32 v25, v25, v29, s11
	s_delay_alu instid0(VALU_DEP_1) | instskip(NEXT) | instid1(VALU_DEP_2)
	v_mov_b32_dpp v26, v23 row_shr:2 row_mask:0xf bank_mask:0xf
	v_mov_b32_dpp v28, v25 row_shr:2 row_mask:0xf bank_mask:0xf
	s_delay_alu instid0(VALU_DEP_1) | instskip(NEXT) | instid1(VALU_DEP_1)
	v_dual_mul_f32 v26, v23, v26 :: v_dual_fma_f32 v28, v23, v28, v25
	v_dual_cndmask_b32 v23, v23, v26, s12 :: v_dual_cndmask_b32 v25, v25, v28, s12
	ds_store_2addr_b32 v38, v23, v25 offset1:1
.LBB5_13:                               ;   in Loop: Header=BB5_4 Depth=1
	s_or_b32 exec_lo, exec_lo, s25
	s_wait_dscnt 0x0
	s_barrier_signal -1
	s_barrier_wait -1
                                        ; implicit-def: $vgpr28
	s_and_saveexec_b32 s25, s3
	s_cbranch_execz .LBB5_15
; %bb.14:                               ;   in Loop: Header=BB5_4 Depth=1
	ds_load_2addr_b32 v[28:29], v36 offset1:1
	s_wait_dscnt 0x0
	v_dual_mul_f32 v23, v21, v28 :: v_dual_fmac_f32 v17, v21, v29
	s_delay_alu instid0(VALU_DEP_1)
	v_mov_b32_e32 v21, v23
.LBB5_15:                               ;   in Loop: Header=BB5_4 Depth=1
	s_or_b32 exec_lo, exec_lo, s25
	ds_bpermute_b32 v21, v35, v21
	ds_bpermute_b32 v17, v35, v17
	s_and_saveexec_b32 s25, s0
	s_delay_alu instid0(SALU_CYCLE_1)
	s_xor_b32 s25, exec_lo, s25
	s_cbranch_execz .LBB5_17
; %bb.16:                               ;   in Loop: Header=BB5_4 Depth=1
	s_wait_dscnt 0x0
	v_cndmask_b32_e64 v13, v17, v29, s5
	;;#ASMSTART
	;;#ASMEND
                                        ; implicit-def: $vgpr24_vgpr25
                                        ; implicit-def: $vgpr40
	s_delay_alu instid0(VALU_DEP_1) | instskip(NEXT) | instid1(VALU_DEP_1)
	v_dual_fma_f32 v10, v12, v13, v10 :: v_dual_cndmask_b32 v13, v21, v28, s5
	v_fmac_f32_e32 v11, v10, v42
	s_delay_alu instid0(VALU_DEP_1) | instskip(NEXT) | instid1(VALU_DEP_1)
	v_fmac_f32_e32 v20, v11, v41
	v_fmac_f32_e32 v27, v20, v22
	s_delay_alu instid0(VALU_DEP_1) | instskip(NEXT) | instid1(VALU_DEP_1)
	v_dual_mul_f32 v12, v12, v13 :: v_dual_mov_b32 v21, v27
	v_mul_f32_e32 v13, v12, v42
	s_delay_alu instid0(VALU_DEP_2) | instskip(NEXT) | instid1(VALU_DEP_2)
	v_mov_b64_e32 v[16:17], v[20:21]
	v_mul_f32_e32 v14, v13, v41
	s_delay_alu instid0(VALU_DEP_1)
	v_mul_f32_e32 v15, v14, v22
.LBB5_17:                               ;   in Loop: Header=BB5_4 Depth=1
	s_and_not1_saveexec_b32 s25, s25
	s_cbranch_execz .LBB5_19
; %bb.18:                               ;   in Loop: Header=BB5_4 Depth=1
	s_wait_dscnt 0x0
	v_dual_mov_b32 v17, v24 :: v_dual_mov_b32 v11, v40
.LBB5_19:                               ;   in Loop: Header=BB5_4 Depth=1
	s_or_b32 exec_lo, exec_lo, s25
	s_wait_dscnt 0x1
	v_dual_mov_b32 v20, v12 :: v_dual_mov_b32 v21, v10
	s_delay_alu instid0(VALU_DEP_2)
	v_dual_mov_b32 v22, v13 :: v_dual_mov_b32 v23, v11
	v_dual_mov_b32 v24, v14 :: v_dual_mov_b32 v25, v16
	s_wait_dscnt 0x0
	v_dual_mov_b32 v26, v15 :: v_dual_mov_b32 v27, v17
	s_clause 0x1
	scratch_store_b128 off, v[20:23], off
	scratch_store_b128 off, v[24:27], off offset:16
	s_wait_storecnt 0x0
	s_barrier_signal -1
	s_barrier_wait -1
	s_wait_xcnt 0x1
	ds_load_2addr_b32 v[20:21], v9 offset1:1
	ds_load_2addr_b32 v[22:23], v39 offset1:1
	s_wait_xcnt 0x0
	s_and_saveexec_b32 s25, s13
	s_cbranch_execz .LBB5_3
; %bb.20:                               ;   in Loop: Header=BB5_4 Depth=1
	scratch_load_b64 v[24:25], v37, off
	s_add_co_i32 s39, s34, s24
	s_wait_loadcnt 0x0
	v_dual_mov_b32 v9, s39 :: v_dual_mul_f32 v18, v18, v24
	v_fmac_f32_e32 v25, v19, v24
	v_add_nc_u32_e64 v24, 0x9000, s15
	s_clause 0x1
	global_store_b32 v9, v18, s[20:21] scale_offset
	global_store_b32 v9, v25, s[22:23] scale_offset
	ds_store_2addr_b32 v24, v18, v25 offset0:8 offset1:16
	s_branch .LBB5_3
.LBB5_21:                               ;   in Loop: Header=BB5_4 Depth=1
                                        ; implicit-def: $sgpr40_sgpr41
                                        ; implicit-def: $vgpr9
	s_branch .LBB5_7
.LBB5_22:
	s_add_nc_u64 s[0:1], s[18:19], s[44:45]
	s_add_co_i32 s33, s33, -1
	s_add_nc_u64 s[0:1], s[0:1], s[26:27]
	v_cmp_gt_u32_e32 vcc_lo, 8, v0
	s_cmp_eq_u32 s34, s33
	v_lshl_add_u64 v[6:7], v[6:7], 2, s[0:1]
	s_cselect_b32 s0, -1, 0
	s_delay_alu instid0(SALU_CYCLE_1)
	s_and_b32 s0, s0, vcc_lo
	global_store_b128 v[6:7], v[2:5], off
	s_wait_xcnt 0x0
	s_and_saveexec_b32 s1, s0
	s_cbranch_execz .LBB5_24
; %bb.23:
	v_lshl_add_u32 v1, v0, 2, 0
	v_add_nc_u32_e32 v0, s14, v0
	ds_load_b32 v1, v1 offset:36928
	s_wait_dscnt 0x0
	global_store_b32 v0, v1, s[16:17] scale_offset
.LBB5_24:
	s_endpgm
	.section	.rodata,"a",@progbits
	.p2align	6, 0x0
	.amdhsa_kernel _Z26selective_scan_vllm_kernelI18SSMFwdKernelTraitsILi128ELi4ELi8ELb0ELb1ELb1EEEv13SSMParamsBase
		.amdhsa_group_segment_fixed_size 0
		.amdhsa_private_segment_fixed_size 48
		.amdhsa_kernarg_size 144
		.amdhsa_user_sgpr_count 2
		.amdhsa_user_sgpr_dispatch_ptr 0
		.amdhsa_user_sgpr_queue_ptr 0
		.amdhsa_user_sgpr_kernarg_segment_ptr 1
		.amdhsa_user_sgpr_dispatch_id 0
		.amdhsa_user_sgpr_kernarg_preload_length 0
		.amdhsa_user_sgpr_kernarg_preload_offset 0
		.amdhsa_user_sgpr_private_segment_size 0
		.amdhsa_wavefront_size32 1
		.amdhsa_uses_dynamic_stack 0
		.amdhsa_enable_private_segment 1
		.amdhsa_system_sgpr_workgroup_id_x 1
		.amdhsa_system_sgpr_workgroup_id_y 1
		.amdhsa_system_sgpr_workgroup_id_z 0
		.amdhsa_system_sgpr_workgroup_info 0
		.amdhsa_system_vgpr_workitem_id 0
		.amdhsa_next_free_vgpr 43
		.amdhsa_next_free_sgpr 50
		.amdhsa_named_barrier_count 0
		.amdhsa_reserve_vcc 1
		.amdhsa_float_round_mode_32 0
		.amdhsa_float_round_mode_16_64 0
		.amdhsa_float_denorm_mode_32 3
		.amdhsa_float_denorm_mode_16_64 3
		.amdhsa_fp16_overflow 0
		.amdhsa_memory_ordered 1
		.amdhsa_forward_progress 1
		.amdhsa_inst_pref_size 25
		.amdhsa_round_robin_scheduling 0
		.amdhsa_exception_fp_ieee_invalid_op 0
		.amdhsa_exception_fp_denorm_src 0
		.amdhsa_exception_fp_ieee_div_zero 0
		.amdhsa_exception_fp_ieee_overflow 0
		.amdhsa_exception_fp_ieee_underflow 0
		.amdhsa_exception_fp_ieee_inexact 0
		.amdhsa_exception_int_div_zero 0
	.end_amdhsa_kernel
	.section	.text._Z26selective_scan_vllm_kernelI18SSMFwdKernelTraitsILi128ELi4ELi8ELb0ELb1ELb1EEEv13SSMParamsBase,"axG",@progbits,_Z26selective_scan_vllm_kernelI18SSMFwdKernelTraitsILi128ELi4ELi8ELb0ELb1ELb1EEEv13SSMParamsBase,comdat
.Lfunc_end5:
	.size	_Z26selective_scan_vllm_kernelI18SSMFwdKernelTraitsILi128ELi4ELi8ELb0ELb1ELb1EEEv13SSMParamsBase, .Lfunc_end5-_Z26selective_scan_vllm_kernelI18SSMFwdKernelTraitsILi128ELi4ELi8ELb0ELb1ELb1EEEv13SSMParamsBase
                                        ; -- End function
	.set _Z26selective_scan_vllm_kernelI18SSMFwdKernelTraitsILi128ELi4ELi8ELb0ELb1ELb1EEEv13SSMParamsBase.num_vgpr, 43
	.set _Z26selective_scan_vllm_kernelI18SSMFwdKernelTraitsILi128ELi4ELi8ELb0ELb1ELb1EEEv13SSMParamsBase.num_agpr, 0
	.set _Z26selective_scan_vllm_kernelI18SSMFwdKernelTraitsILi128ELi4ELi8ELb0ELb1ELb1EEEv13SSMParamsBase.numbered_sgpr, 50
	.set _Z26selective_scan_vllm_kernelI18SSMFwdKernelTraitsILi128ELi4ELi8ELb0ELb1ELb1EEEv13SSMParamsBase.num_named_barrier, 0
	.set _Z26selective_scan_vllm_kernelI18SSMFwdKernelTraitsILi128ELi4ELi8ELb0ELb1ELb1EEEv13SSMParamsBase.private_seg_size, 48
	.set _Z26selective_scan_vllm_kernelI18SSMFwdKernelTraitsILi128ELi4ELi8ELb0ELb1ELb1EEEv13SSMParamsBase.uses_vcc, 1
	.set _Z26selective_scan_vllm_kernelI18SSMFwdKernelTraitsILi128ELi4ELi8ELb0ELb1ELb1EEEv13SSMParamsBase.uses_flat_scratch, 1
	.set _Z26selective_scan_vllm_kernelI18SSMFwdKernelTraitsILi128ELi4ELi8ELb0ELb1ELb1EEEv13SSMParamsBase.has_dyn_sized_stack, 0
	.set _Z26selective_scan_vllm_kernelI18SSMFwdKernelTraitsILi128ELi4ELi8ELb0ELb1ELb1EEEv13SSMParamsBase.has_recursion, 0
	.set _Z26selective_scan_vllm_kernelI18SSMFwdKernelTraitsILi128ELi4ELi8ELb0ELb1ELb1EEEv13SSMParamsBase.has_indirect_call, 0
	.section	.AMDGPU.csdata,"",@progbits
; Kernel info:
; codeLenInByte = 3080
; TotalNumSgprs: 52
; NumVgprs: 43
; ScratchSize: 48
; MemoryBound: 0
; FloatMode: 240
; IeeeMode: 1
; LDSByteSize: 0 bytes/workgroup (compile time only)
; SGPRBlocks: 0
; VGPRBlocks: 2
; NumSGPRsForWavesPerEU: 52
; NumVGPRsForWavesPerEU: 43
; NamedBarCnt: 0
; Occupancy: 16
; WaveLimiterHint : 0
; COMPUTE_PGM_RSRC2:SCRATCH_EN: 1
; COMPUTE_PGM_RSRC2:USER_SGPR: 2
; COMPUTE_PGM_RSRC2:TRAP_HANDLER: 0
; COMPUTE_PGM_RSRC2:TGID_X_EN: 1
; COMPUTE_PGM_RSRC2:TGID_Y_EN: 1
; COMPUTE_PGM_RSRC2:TGID_Z_EN: 0
; COMPUTE_PGM_RSRC2:TIDIG_COMP_CNT: 0
	.section	.text._Z26selective_scan_vllm_kernelI18SSMFwdKernelTraitsILi128ELi4ELi8ELb0ELb1ELb0EEEv13SSMParamsBase,"axG",@progbits,_Z26selective_scan_vllm_kernelI18SSMFwdKernelTraitsILi128ELi4ELi8ELb0ELb1ELb0EEEv13SSMParamsBase,comdat
	.protected	_Z26selective_scan_vllm_kernelI18SSMFwdKernelTraitsILi128ELi4ELi8ELb0ELb1ELb0EEEv13SSMParamsBase ; -- Begin function _Z26selective_scan_vllm_kernelI18SSMFwdKernelTraitsILi128ELi4ELi8ELb0ELb1ELb0EEEv13SSMParamsBase
	.globl	_Z26selective_scan_vllm_kernelI18SSMFwdKernelTraitsILi128ELi4ELi8ELb0ELb1ELb0EEEv13SSMParamsBase
	.p2align	8
	.type	_Z26selective_scan_vllm_kernelI18SSMFwdKernelTraitsILi128ELi4ELi8ELb0ELb1ELb0EEEv13SSMParamsBase,@function
_Z26selective_scan_vllm_kernelI18SSMFwdKernelTraitsILi128ELi4ELi8ELb0ELb1ELb0EEEv13SSMParamsBase: ; @_Z26selective_scan_vllm_kernelI18SSMFwdKernelTraitsILi128ELi4ELi8ELb0ELb1ELb0EEEv13SSMParamsBase
; %bb.0:
	s_load_b64 s[8:9], s[0:1], 0x4
	s_bfe_u32 s3, ttmp6, 0x4000c
	s_bfe_u32 s4, ttmp6, 0x40010
	s_add_co_i32 s3, s3, 1
	s_add_co_i32 s4, s4, 1
	s_and_b32 s2, ttmp6, 15
	s_bfe_u32 s5, ttmp6, 0x40004
	s_mul_i32 s3, ttmp9, s3
	s_mul_i32 s4, ttmp7, s4
	s_getreg_b32 s6, hwreg(HW_REG_IB_STS2, 6, 4)
	s_add_co_i32 s2, s2, s3
	s_add_co_i32 s5, s5, s4
	s_cmp_eq_u32 s6, 0
	s_clause 0x2
	s_load_b256 s[16:23], s[0:1], 0x18
	s_load_b128 s[36:39], s[0:1], 0x38
	s_load_b64 s[6:7], s[0:1], 0x48
	s_cselect_b32 s35, ttmp9, s2
	s_cselect_b32 s34, ttmp7, s5
	s_clause 0x1
	s_load_b64 s[10:11], s[0:1], 0x88
	s_load_b128 s[40:43], s[0:1], 0x78
	s_mov_b32 s13, 0
	v_cmp_eq_u32_e64 s3, 0, v0
	s_mov_b32 s5, s13
	s_wait_kmcnt 0x0
	s_abs_i32 s14, s8
	s_ashr_i32 s15, s35, 31
	s_cvt_f32_u32 s2, s14
	s_sub_co_i32 s12, 0, s14
	s_delay_alu instid0(SALU_CYCLE_2) | instskip(SKIP_1) | instid1(TRANS32_DEP_1)
	v_rcp_iflag_f32_e32 v1, s2
	v_nop
	v_readfirstlane_b32 s2, v1
	s_mul_f32 s2, s2, 0x4f7ffffe
	s_delay_alu instid0(SALU_CYCLE_3) | instskip(SKIP_1) | instid1(SALU_CYCLE_2)
	s_cvt_u32_f32 s4, s2
	v_cmp_ne_u32_e64 s2, 0, v0
	s_mul_i32 s12, s12, s4
	s_delay_alu instid0(SALU_CYCLE_1)
	s_mul_hi_u32 s24, s4, s12
	s_abs_i32 s12, s35
	s_add_co_i32 s4, s4, s24
	s_ashr_i32 s24, s8, 31
	s_mul_u64 s[4:5], s[12:13], s[4:5]
	s_lshl_b32 s4, s34, 9
	s_and_saveexec_b32 s13, s3
	s_cbranch_execz .LBB6_2
; %bb.1:
	s_add_co_i32 s25, s4, 0x200
	s_not_b32 s26, s4
	s_min_i32 s25, s25, s9
	v_mov_b32_e32 v1, 0
	s_add_co_i32 s25, s25, s26
	s_delay_alu instid0(SALU_CYCLE_1) | instskip(NEXT) | instid1(SALU_CYCLE_1)
	s_ashr_i32 s26, s25, 31
	s_lshr_b32 s26, s26, 30
	s_delay_alu instid0(SALU_CYCLE_1) | instskip(NEXT) | instid1(SALU_CYCLE_1)
	s_add_co_i32 s26, s25, s26
	s_and_b32 s27, s26, -4
	s_ashr_i32 s26, s26, 2
	s_sub_co_i32 s25, s25, s27
	s_delay_alu instid0(SALU_CYCLE_1)
	v_dual_mov_b32 v2, s26 :: v_dual_mov_b32 v3, s25
	ds_store_b64 v1, v[2:3] offset:36960
.LBB6_2:
	s_or_b32 exec_lo, exec_lo, s13
	s_mul_i32 s13, s5, s14
	s_xor_b32 s15, s15, s24
	s_sub_co_i32 s12, s12, s13
	s_add_co_i32 s13, s5, 1
	s_sub_co_i32 s24, s12, s14
	s_cmp_ge_u32 s12, s14
	v_dual_mov_b32 v5, 0 :: v_dual_lshlrev_b32 v1, 2, v0
	s_cselect_b32 s5, s13, s5
	s_cselect_b32 s12, s24, s12
	s_add_co_i32 s13, s5, 1
	s_wait_dscnt 0x0
	s_cmp_ge_u32 s12, s14
	s_barrier_signal -1
	s_barrier_wait -1
	ds_load_b64 v[2:3], v5 offset:36960
	s_cselect_b32 s5, s13, s5
	v_dual_add_nc_u32 v10, s4, v1 :: v_dual_mov_b32 v4, 0
	s_xor_b32 s5, s5, s15
	s_delay_alu instid0(SALU_CYCLE_1) | instskip(NEXT) | instid1(VALU_DEP_1)
	s_sub_co_i32 s46, s5, s15
	v_cmp_gt_i32_e64 s4, s9, v10
	s_mul_i32 s5, s46, s8
	s_mul_i32 s14, s46, s40
	s_sub_co_i32 s12, s35, s5
	s_ashr_i32 s15, s14, 31
	s_ashr_i32 s13, s12, 31
	s_lshl_b64 s[44:45], s[14:15], 2
	s_mul_i32 s14, s12, s41
	v_cmp_le_i32_e64 s5, s9, v10
	s_ashr_i32 s15, s14, 31
	s_add_nc_u64 s[16:17], s[16:17], s[44:45]
	s_lshl_b64 s[40:41], s[14:15], 2
	s_lshl_b64 s[14:15], s[12:13], 2
	s_add_nc_u64 s[24:25], s[16:17], s[40:41]
	s_add_nc_u64 s[6:7], s[6:7], s[14:15]
	s_and_saveexec_b32 s8, s4
	s_cbranch_execz .LBB6_4
; %bb.3:
	global_load_b32 v4, v10, s[24:25] scale_offset
.LBB6_4:
	s_wait_xcnt 0x0
	s_or_b32 exec_lo, exec_lo, s8
	s_load_b32 s13, s[6:7], 0x0
	s_wait_xcnt 0x0
	s_add_nc_u64 s[6:7], s[18:19], s[44:45]
	s_delay_alu instid0(SALU_CYCLE_1)
	s_add_nc_u64 s[16:17], s[6:7], s[40:41]
	s_and_saveexec_b32 s6, s4
	s_cbranch_execz .LBB6_6
; %bb.5:
	global_load_b32 v5, v10, s[16:17] scale_offset
.LBB6_6:
	s_wait_xcnt 0x0
	s_or_b32 exec_lo, exec_lo, s6
	s_wait_loadcnt 0x0
	s_wait_kmcnt 0x0
	v_add_f32_e32 v5, s13, v5
	v_lshl_add_u32 v1, v1, 2, 0
	s_delay_alu instid0(VALU_DEP_2) | instskip(NEXT) | instid1(VALU_DEP_2)
	v_mul_f32_e32 v6, 0x3fb8aa3b, v5
	v_add_nc_u32_e32 v9, 32, v1
	s_delay_alu instid0(VALU_DEP_2) | instskip(SKIP_1) | instid1(TRANS32_DEP_1)
	v_exp_f32_e32 v6, v6
	v_nop
	v_add_f32_e32 v6, 1.0, v6
	s_delay_alu instid0(VALU_DEP_1) | instskip(SKIP_2) | instid1(VALU_DEP_2)
	v_cmp_gt_f32_e32 vcc_lo, 0x800000, v6
	v_cndmask_b32_e64 v7, 0, 32, vcc_lo
	v_cndmask_b32_e64 v8, 0, 0x41b17218, vcc_lo
	v_ldexp_f32 v6, v6, v7
	s_delay_alu instid0(VALU_DEP_1) | instskip(SKIP_1) | instid1(TRANS32_DEP_1)
	v_log_f32_e32 v6, v6
	v_nop
	v_mul_f32_e32 v7, 0x3f317217, v6
	v_cmp_gt_f32_e64 vcc_lo, 0x7f800000, |v6|
	s_delay_alu instid0(VALU_DEP_2) | instskip(NEXT) | instid1(VALU_DEP_1)
	v_fma_f32 v7, 0x3f317217, v6, -v7
	v_fmamk_f32 v7, v6, 0x3377d1cf, v7
	s_delay_alu instid0(VALU_DEP_1) | instskip(NEXT) | instid1(VALU_DEP_1)
	v_fmac_f32_e32 v7, 0x3f317217, v6
	v_cndmask_b32_e32 v6, v6, v7, vcc_lo
	v_cmp_lt_f32_e32 vcc_lo, 0x41a00000, v5
	s_delay_alu instid0(VALU_DEP_2) | instskip(NEXT) | instid1(VALU_DEP_1)
	v_dual_sub_f32 v7, v6, v8 :: v_dual_bitop2_b32 v8, 1, v10 bitop3:0x54
	v_dual_mov_b32 v6, 0 :: v_dual_cndmask_b32 v7, v7, v5
	s_delay_alu instid0(VALU_DEP_2)
	v_cmp_gt_i32_e64 s6, s9, v8
	v_mov_b32_e32 v5, 0
	ds_store_2addr_stride64_b32 v9, v4, v7 offset1:8
	s_and_saveexec_b32 s7, s6
	s_cbranch_execz .LBB6_8
; %bb.7:
	global_load_b32 v5, v10, s[24:25] offset:4 scale_offset
.LBB6_8:
	s_wait_xcnt 0x0
	s_or_b32 exec_lo, exec_lo, s7
	s_and_saveexec_b32 s7, s6
	s_cbranch_execz .LBB6_10
; %bb.9:
	global_load_b32 v6, v10, s[16:17] offset:4 scale_offset
.LBB6_10:
	s_wait_xcnt 0x0
	s_or_b32 exec_lo, exec_lo, s7
	s_wait_loadcnt 0x0
	v_dual_add_f32 v6, s13, v6 :: v_dual_add_nc_u32 v9, 36, v1
	s_delay_alu instid0(VALU_DEP_1) | instskip(NEXT) | instid1(VALU_DEP_1)
	v_mul_f32_e32 v4, 0x3fb8aa3b, v6
	v_exp_f32_e32 v4, v4
	v_nop
	s_delay_alu instid0(TRANS32_DEP_1) | instskip(NEXT) | instid1(VALU_DEP_1)
	v_add_f32_e32 v4, 1.0, v4
	v_cmp_gt_f32_e32 vcc_lo, 0x800000, v4
	v_cndmask_b32_e64 v7, 0, 32, vcc_lo
	v_cndmask_b32_e64 v8, 0, 0x41b17218, vcc_lo
	s_delay_alu instid0(VALU_DEP_2) | instskip(NEXT) | instid1(VALU_DEP_1)
	v_ldexp_f32 v4, v4, v7
	v_log_f32_e32 v4, v4
	v_nop
	s_delay_alu instid0(TRANS32_DEP_1) | instskip(SKIP_1) | instid1(VALU_DEP_2)
	v_mul_f32_e32 v7, 0x3f317217, v4
	v_cmp_gt_f32_e64 vcc_lo, 0x7f800000, |v4|
	v_fma_f32 v7, 0x3f317217, v4, -v7
	s_delay_alu instid0(VALU_DEP_1) | instskip(NEXT) | instid1(VALU_DEP_1)
	v_fmamk_f32 v7, v4, 0x3377d1cf, v7
	v_fmac_f32_e32 v7, 0x3f317217, v4
	s_delay_alu instid0(VALU_DEP_1) | instskip(SKIP_1) | instid1(VALU_DEP_2)
	v_cndmask_b32_e32 v4, v4, v7, vcc_lo
	v_cmp_lt_f32_e32 vcc_lo, 0x41a00000, v6
	v_dual_sub_f32 v7, v4, v8 :: v_dual_bitop2_b32 v8, 2, v10 bitop3:0x54
	s_delay_alu instid0(VALU_DEP_1) | instskip(NEXT) | instid1(VALU_DEP_2)
	v_dual_mov_b32 v4, 0 :: v_dual_cndmask_b32 v7, v7, v6
	v_cmp_gt_i32_e64 s7, s9, v8
	v_mov_b32_e32 v6, 0
	ds_store_2addr_stride64_b32 v9, v5, v7 offset1:8
	s_and_saveexec_b32 s8, s7
	s_cbranch_execz .LBB6_12
; %bb.11:
	global_load_b32 v6, v10, s[24:25] offset:8 scale_offset
.LBB6_12:
	s_wait_xcnt 0x0
	s_or_b32 exec_lo, exec_lo, s8
	s_and_saveexec_b32 s8, s7
	s_cbranch_execz .LBB6_14
; %bb.13:
	global_load_b32 v4, v10, s[16:17] offset:8 scale_offset
.LBB6_14:
	s_wait_xcnt 0x0
	s_or_b32 exec_lo, exec_lo, s8
	s_wait_loadcnt 0x0
	v_dual_add_f32 v5, s13, v4 :: v_dual_add_nc_u32 v9, 40, v1
	s_delay_alu instid0(VALU_DEP_1) | instskip(NEXT) | instid1(VALU_DEP_1)
	v_mul_f32_e32 v4, 0x3fb8aa3b, v5
	v_exp_f32_e32 v4, v4
	v_nop
	s_delay_alu instid0(TRANS32_DEP_1) | instskip(NEXT) | instid1(VALU_DEP_1)
	v_add_f32_e32 v4, 1.0, v4
	v_cmp_gt_f32_e32 vcc_lo, 0x800000, v4
	v_cndmask_b32_e64 v7, 0, 32, vcc_lo
	v_cndmask_b32_e64 v8, 0, 0x41b17218, vcc_lo
	s_delay_alu instid0(VALU_DEP_2) | instskip(NEXT) | instid1(VALU_DEP_1)
	v_ldexp_f32 v4, v4, v7
	v_log_f32_e32 v4, v4
	v_nop
	s_delay_alu instid0(TRANS32_DEP_1) | instskip(SKIP_1) | instid1(VALU_DEP_2)
	v_mul_f32_e32 v7, 0x3f317217, v4
	v_cmp_gt_f32_e64 vcc_lo, 0x7f800000, |v4|
	v_fma_f32 v7, 0x3f317217, v4, -v7
	s_delay_alu instid0(VALU_DEP_1) | instskip(NEXT) | instid1(VALU_DEP_1)
	v_fmamk_f32 v7, v4, 0x3377d1cf, v7
	v_fmac_f32_e32 v7, 0x3f317217, v4
	s_delay_alu instid0(VALU_DEP_1) | instskip(SKIP_1) | instid1(VALU_DEP_2)
	v_cndmask_b32_e32 v4, v4, v7, vcc_lo
	v_cmp_lt_f32_e32 vcc_lo, 0x41a00000, v5
	v_dual_sub_f32 v7, v4, v8 :: v_dual_bitop2_b32 v8, 3, v10 bitop3:0x54
	s_delay_alu instid0(VALU_DEP_1) | instskip(NEXT) | instid1(VALU_DEP_2)
	v_dual_mov_b32 v4, 0 :: v_dual_cndmask_b32 v5, v7, v5
	v_cmp_gt_i32_e64 s8, s9, v8
	v_cmp_le_i32_e32 vcc_lo, s9, v8
	ds_store_2addr_stride64_b32 v9, v6, v5 offset1:8
	s_and_saveexec_b32 s9, s8
	s_cbranch_execz .LBB6_16
; %bb.15:
	global_load_b32 v4, v10, s[24:25] offset:12 scale_offset
.LBB6_16:
	s_wait_xcnt 0x0
	s_or_b32 exec_lo, exec_lo, s9
	v_ashrrev_i32_e32 v11, 31, v10
	s_and_saveexec_b32 s9, vcc_lo
	s_delay_alu instid0(SALU_CYCLE_1) | instskip(NEXT) | instid1(SALU_CYCLE_1)
	s_xor_b32 s9, exec_lo, s9
	s_or_saveexec_b32 s9, s9
	s_clause 0x1
	s_load_b32 s19, s[0:1], 0x10
	s_load_b256 s[24:31], s[0:1], 0x58
	v_dual_mov_b32 v34, 0 :: v_dual_mov_b32 v5, 0
	s_xor_b32 exec_lo, exec_lo, s9
	s_cbranch_execz .LBB6_18
; %bb.17:
	global_load_b32 v5, v10, s[16:17] offset:12 scale_offset
.LBB6_18:
	s_wait_xcnt 0x0
	s_or_b32 exec_lo, exec_lo, s9
	s_wait_loadcnt 0x0
	v_dual_add_f32 v5, s13, v5 :: v_dual_bitop2_b32 v12, 31, v0 bitop3:0x54
	v_lshlrev_b32_e32 v14, 3, v0
	s_add_nc_u64 s[14:15], s[38:39], s[14:15]
	s_mul_i32 s38, s46, s42
	s_delay_alu instid0(VALU_DEP_2)
	v_dual_mul_f32 v6, 0x3fb8aa3b, v5 :: v_dual_lshrrev_b32 v13, 2, v0
	s_mul_i32 s46, s46, s10
	s_wait_dscnt 0x3
	v_cmp_eq_u32_e64 s9, v0, v2
	v_cmp_eq_u32_e64 s10, v0, v12
	v_exp_f32_e32 v6, v6
	v_and_b32_e32 v12, 24, v13
	s_lshl_b32 s16, s12, 3
	s_mul_i32 s42, s12, s11
	s_cmp_lg_u32 s34, 0
	v_mbcnt_lo_u32_b32 v9, -1, 0
	s_cselect_b32 s52, -1, 0
	v_add_f32_e32 v6, 1.0, v6
	s_add_co_i32 s42, s42, s46
	s_ashr_i32 s17, s16, 31
	v_cmp_gt_u32_e64 s0, 4, v0
	v_cmp_lt_u32_e64 s1, 31, v0
	v_cmp_gt_f32_e32 vcc_lo, 0x800000, v6
	v_lshl_add_u32 v35, v0, 4, 0x1020
	s_lshl_b64 s[48:49], s[16:17], 2
	s_wait_kmcnt 0x0
	s_mul_i32 s39, s35, s19
	s_mov_b32 s33, 0
	v_cndmask_b32_e64 v7, 0, 32, vcc_lo
	v_cndmask_b32_e64 v2, 0, 0x41b17218, vcc_lo
	s_ashr_i32 s35, s34, 31
	s_add_nc_u64 s[20:21], s[20:21], s[48:49]
	s_mov_b32 s48, s42
	v_ldexp_f32 v6, v6, v7
	v_dual_lshlrev_b32 v15, 3, v3 :: v_dual_add_nc_u32 v39, 0, v12
	v_and_b32_e32 v13, 3, v9
	v_add_nc_u32_e32 v36, 0x820, v1
	s_delay_alu instid0(VALU_DEP_4) | instskip(NEXT) | instid1(VALU_DEP_3)
	v_log_f32_e32 v6, v6
	v_dual_mov_b32 v38, v15 :: v_dual_add_nc_u32 v7, 44, v1
	v_add_nc_u32_e32 v41, -8, v39
	v_cmp_eq_u32_e64 s17, 0, v13
	v_cmp_lt_u32_e64 s18, 1, v13
	v_sub_nc_u32_e32 v16, 0, v14
	s_delay_alu instid0(TRANS32_DEP_1) | instskip(SKIP_1) | instid1(VALU_DEP_3)
	v_mul_f32_e32 v8, 0x3f317217, v6
	v_cmp_gt_f32_e64 vcc_lo, 0x7f800000, |v6|
	v_add_nc_u32_e32 v42, v1, v16
	s_delay_alu instid0(VALU_DEP_3) | instskip(NEXT) | instid1(VALU_DEP_1)
	v_fma_f32 v8, 0x3f317217, v6, -v8
	v_fmamk_f32 v8, v6, 0x3377d1cf, v8
	s_delay_alu instid0(VALU_DEP_1) | instskip(NEXT) | instid1(VALU_DEP_1)
	v_fmac_f32_e32 v8, 0x3f317217, v6
	v_cndmask_b32_e32 v3, v6, v8, vcc_lo
	v_add_nc_u32_e32 v37, 0x828, v1
	v_cmp_lt_f32_e32 vcc_lo, 0x41a00000, v5
	s_delay_alu instid0(VALU_DEP_3) | instskip(NEXT) | instid1(VALU_DEP_1)
	v_dual_sub_f32 v2, v3, v2 :: v_dual_bitop2_b32 v6, 15, v9 bitop3:0x40
	v_cmp_eq_u32_e64 s12, 0, v6
	v_cmp_lt_u32_e64 s13, 1, v6
	s_delay_alu instid0(VALU_DEP_3)
	v_cndmask_b32_e32 v2, v2, v5, vcc_lo
	ds_store_2addr_stride64_b32 v7, v4, v2 offset1:8
	s_wait_dscnt 0x0
	s_barrier_signal -1
	s_barrier_wait -1
	s_load_b32 s46, s[14:15], 0x0
	ds_load_2addr_b32 v[2:3], v1 offset0:8 offset1:9
	ds_load_2addr_b32 v[4:5], v1 offset0:10 offset1:11
	v_sub_co_u32 v7, s11, v9, 1
	s_wait_xcnt 0x0
	v_cmp_lt_u32_e64 s14, 3, v6
	v_cmp_lt_u32_e64 s15, 7, v6
	s_delay_alu instid0(VALU_DEP_3) | instskip(SKIP_1) | instid1(VALU_DEP_1)
	v_cmp_gt_i32_e32 vcc_lo, 0, v7
	v_dual_cndmask_b32 v6, v7, v9, vcc_lo :: v_dual_bitop2_b32 v8, 16, v9 bitop3:0x40
	v_cmp_eq_u32_e64 s16, 0, v8
	s_delay_alu instid0(VALU_DEP_2)
	v_lshlrev_b32_e32 v40, 2, v6
	s_wait_dscnt 0x1
	s_wait_kmcnt 0x0
	v_pk_mul_f32 v[14:15], s[46:47], v[2:3] op_sel_hi:[0,1]
	s_wait_dscnt 0x0
	v_pk_mul_f32 v[12:13], s[46:47], v[4:5] op_sel_hi:[0,1]
	s_lshl_b32 s46, s39, 3
	s_branch .LBB6_20
.LBB6_19:                               ;   in Loop: Header=BB6_20 Depth=1
	s_wait_xcnt 0x0
	s_or_b32 exec_lo, exec_lo, s47
	v_dual_mov_b32 v16, v17 :: v_dual_mov_b32 v22, v2
	v_dual_mov_b32 v23, v4 :: v_dual_mov_b32 v4, v3
	;; [unrolled: 1-line block ×3, first 2 shown]
	v_dual_mov_b32 v8, v7 :: v_dual_add_nc_u32 v35, 0x800, v35
	s_delay_alu instid0(VALU_DEP_3) | instskip(SKIP_2) | instid1(VALU_DEP_2)
	v_pk_fma_f32 v[4:5], v[16:17], v[22:23], v[4:5] op_sel_hi:[0,1,1]
	s_add_co_i32 s33, s33, 4
	s_add_co_i32 s38, s38, s43
	v_pk_fma_f32 v[2:3], v[16:17], v[2:3], v[8:9] op_sel_hi:[0,1,1]
	s_add_co_i32 s48, s48, 1
	s_wait_dscnt 0x1
	v_pk_fma_f32 v[14:15], v[20:21], v[4:5], v[14:15]
	s_add_co_i32 s46, s46, s19
	s_cmp_eq_u32 s33, 32
	s_wait_dscnt 0x0
	v_pk_fma_f32 v[12:13], v[18:19], v[2:3], v[12:13]
	s_add_nc_u64 s[20:21], s[20:21], 4
	s_wait_storecnt 0x0
	s_barrier_signal -1
	s_barrier_wait -1
	s_cbranch_scc1 .LBB6_54
.LBB6_20:                               ; =>This Inner Loop Header: Depth=1
	s_and_saveexec_b32 s39, s3
	s_cbranch_execz .LBB6_25
; %bb.21:                               ;   in Loop: Header=BB6_20 Depth=1
	s_and_b32 vcc_lo, exec_lo, s52
	s_cbranch_vccz .LBB6_53
; %bb.22:                               ;   in Loop: Header=BB6_20 Depth=1
	s_ashr_i32 s47, s46, 31
	s_delay_alu instid0(SALU_CYCLE_1) | instskip(NEXT) | instid1(SALU_CYCLE_1)
	s_add_nc_u64 s[50:51], s[34:35], s[46:47]
	s_lshl_b64 s[50:51], s[50:51], 2
	s_delay_alu instid0(SALU_CYCLE_1)
	s_add_nc_u64 s[54:55], s[28:29], s[50:51]
	s_add_nc_u64 s[50:51], s[30:31], s[50:51]
	global_load_b32 v2, v34, s[54:55] offset:-4
	s_add_nc_u64 s[50:51], s[50:51], -4
	s_cbranch_execnz .LBB6_24
.LBB6_23:                               ;   in Loop: Header=BB6_20 Depth=1
	s_ashr_i32 s49, s48, 31
	s_wait_loadcnt 0x0
	v_mov_b32_e32 v2, 1.0
	s_lshl_b64 s[50:51], s[48:49], 2
	s_delay_alu instid0(SALU_CYCLE_1)
	s_add_nc_u64 s[50:51], s[24:25], s[50:51]
.LBB6_24:                               ;   in Loop: Header=BB6_20 Depth=1
	global_load_b32 v3, v34, s[50:51]
	s_add_co_i32 s47, s33, 0
	s_delay_alu instid0(SALU_CYCLE_1)
	v_add_nc_u32_e64 v4, 0x9000, s47
	s_wait_loadcnt 0x0
	ds_store_2addr_b32 v4, v2, v3 offset0:8 offset1:16
.LBB6_25:                               ;   in Loop: Header=BB6_20 Depth=1
	s_or_b32 exec_lo, exec_lo, s39
	v_add_nc_u32_e32 v43, 0, v35
	s_and_saveexec_b32 s39, s5
	s_delay_alu instid0(SALU_CYCLE_1)
	s_xor_b32 s39, exec_lo, s39
; %bb.26:                               ;   in Loop: Header=BB6_20 Depth=1
	ds_store_b32 v43, v34
; %bb.27:                               ;   in Loop: Header=BB6_20 Depth=1
	s_or_saveexec_b32 s39, s39
	v_dual_mov_b32 v3, 0 :: v_dual_mov_b32 v2, 0
	s_xor_b32 exec_lo, exec_lo, s39
	s_cbranch_execz .LBB6_29
; %bb.28:                               ;   in Loop: Header=BB6_20 Depth=1
	v_add_nc_u32_e32 v4, s38, v10
	s_clause 0x1
	global_load_b32 v5, v4, s[22:23] scale_offset
	global_load_b32 v2, v4, s[36:37] scale_offset
	s_wait_loadcnt 0x1
	ds_store_b32 v43, v5
.LBB6_29:                               ;   in Loop: Header=BB6_20 Depth=1
	s_wait_xcnt 0x0
	s_or_b32 exec_lo, exec_lo, s39
	s_wait_loadcnt 0x0
	ds_store_b32 v43, v2 offset:16384
	s_and_saveexec_b32 s47, s6
	s_cbranch_execz .LBB6_31
; %bb.30:                               ;   in Loop: Header=BB6_20 Depth=1
	s_ashr_i32 s39, s38, 31
	s_delay_alu instid0(SALU_CYCLE_1) | instskip(NEXT) | instid1(VALU_DEP_1)
	v_add_nc_u64_e32 v[2:3], s[38:39], v[10:11]
	v_lshl_add_u64 v[2:3], v[2:3], 2, s[22:23]
	global_load_b32 v3, v[2:3], off offset:4
.LBB6_31:                               ;   in Loop: Header=BB6_20 Depth=1
	s_wait_xcnt 0x0
	s_or_b32 exec_lo, exec_lo, s47
	v_dual_mov_b32 v2, 0 :: v_dual_mov_b32 v4, 0
	s_wait_loadcnt 0x0
	ds_store_b32 v43, v3 offset:4
	s_and_saveexec_b32 s47, s6
	s_cbranch_execz .LBB6_33
; %bb.32:                               ;   in Loop: Header=BB6_20 Depth=1
	s_ashr_i32 s39, s38, 31
	s_delay_alu instid0(SALU_CYCLE_1) | instskip(NEXT) | instid1(VALU_DEP_1)
	v_add_nc_u64_e32 v[4:5], s[38:39], v[10:11]
	v_lshl_add_u64 v[4:5], v[4:5], 2, s[36:37]
	global_load_b32 v4, v[4:5], off offset:4
.LBB6_33:                               ;   in Loop: Header=BB6_20 Depth=1
	s_wait_xcnt 0x0
	s_or_b32 exec_lo, exec_lo, s47
	s_wait_loadcnt 0x0
	ds_store_b32 v43, v4 offset:16388
	s_and_saveexec_b32 s47, s7
	s_cbranch_execz .LBB6_35
; %bb.34:                               ;   in Loop: Header=BB6_20 Depth=1
	s_ashr_i32 s39, s38, 31
	s_delay_alu instid0(SALU_CYCLE_1) | instskip(NEXT) | instid1(VALU_DEP_1)
	v_add_nc_u64_e32 v[2:3], s[38:39], v[10:11]
	v_lshl_add_u64 v[2:3], v[2:3], 2, s[22:23]
	global_load_b32 v2, v[2:3], off offset:8
.LBB6_35:                               ;   in Loop: Header=BB6_20 Depth=1
	s_wait_xcnt 0x0
	s_or_b32 exec_lo, exec_lo, s47
	v_dual_mov_b32 v3, 0 :: v_dual_mov_b32 v4, 0
	s_wait_loadcnt 0x0
	ds_store_b32 v43, v2 offset:8
	s_and_saveexec_b32 s47, s7
	s_cbranch_execz .LBB6_37
; %bb.36:                               ;   in Loop: Header=BB6_20 Depth=1
	s_ashr_i32 s39, s38, 31
	s_delay_alu instid0(SALU_CYCLE_1) | instskip(NEXT) | instid1(VALU_DEP_1)
	v_add_nc_u64_e32 v[4:5], s[38:39], v[10:11]
	v_lshl_add_u64 v[4:5], v[4:5], 2, s[36:37]
	global_load_b32 v4, v[4:5], off offset:8
.LBB6_37:                               ;   in Loop: Header=BB6_20 Depth=1
	s_wait_xcnt 0x0
	s_or_b32 exec_lo, exec_lo, s47
	s_wait_loadcnt 0x0
	ds_store_b32 v43, v4 offset:16392
	s_and_saveexec_b32 s47, s8
	s_cbranch_execz .LBB6_39
; %bb.38:                               ;   in Loop: Header=BB6_20 Depth=1
	s_ashr_i32 s39, s38, 31
	s_delay_alu instid0(SALU_CYCLE_1) | instskip(NEXT) | instid1(VALU_DEP_1)
	v_add_nc_u64_e32 v[2:3], s[38:39], v[10:11]
	v_lshl_add_u64 v[2:3], v[2:3], 2, s[22:23]
	global_load_b32 v3, v[2:3], off offset:12
.LBB6_39:                               ;   in Loop: Header=BB6_20 Depth=1
	s_wait_xcnt 0x0
	s_or_b32 exec_lo, exec_lo, s47
	v_mov_b32_e32 v2, 0
	s_wait_loadcnt 0x0
	ds_store_b32 v43, v3 offset:12
	s_and_saveexec_b32 s47, s8
	s_cbranch_execz .LBB6_41
; %bb.40:                               ;   in Loop: Header=BB6_20 Depth=1
	s_ashr_i32 s39, s38, 31
	s_delay_alu instid0(SALU_CYCLE_1) | instskip(NEXT) | instid1(VALU_DEP_1)
	v_add_nc_u64_e32 v[2:3], s[38:39], v[10:11]
	v_lshl_add_u64 v[2:3], v[2:3], 2, s[36:37]
	global_load_b32 v2, v[2:3], off offset:12
.LBB6_41:                               ;   in Loop: Header=BB6_20 Depth=1
	s_wait_xcnt 0x0
	s_or_b32 exec_lo, exec_lo, s47
	s_wait_loadcnt 0x0
	ds_store_b32 v43, v2 offset:16396
	s_wait_dscnt 0x0
	s_barrier_signal -1
	s_barrier_wait -1
	global_load_b32 v22, v34, s[20:21]
	ds_load_2addr_b32 v[2:3], v36 offset1:1
	ds_load_2addr_b32 v[4:5], v43 offset1:1
	ds_load_2addr_b32 v[6:7], v1 offset0:8 offset1:9
	ds_load_2addr_b32 v[8:9], v43 offset0:2 offset1:3
	ds_load_2addr_b32 v[16:17], v37 offset1:1
	ds_load_2addr_b32 v[24:25], v1 offset0:10 offset1:11
	s_add_co_i32 s39, s33, 0
	s_wait_loadcnt_dscnt 0x1
	v_dual_mul_f32 v27, v16, v8 :: v_dual_mul_f32 v18, v3, v22
	v_dual_mul_f32 v19, v2, v22 :: v_dual_mul_f32 v2, v2, v4
	;; [unrolled: 1-line block ×3, first 2 shown]
	s_delay_alu instid0(VALU_DEP_3) | instskip(SKIP_1) | instid1(VALU_DEP_4)
	v_mul_f32_e32 v18, 0x3fb8aa3b, v18
	v_add_nc_u32_e64 v16, 0x9000, s39
	v_mul_f32_e32 v44, v6, v2
	v_mul_f32_e32 v6, v17, v22
	s_delay_alu instid0(VALU_DEP_4) | instskip(SKIP_1) | instid1(TRANS32_DEP_1)
	v_exp_f32_e32 v18, v18
	v_mul_f32_e32 v4, 0x3fb8aa3b, v19
	v_dual_mul_f32 v19, v7, v3 :: v_dual_mul_f32 v3, v44, v18
	s_delay_alu instid0(VALU_DEP_2) | instskip(SKIP_2) | instid1(VALU_DEP_1)
	v_exp_f32_e32 v2, v4
	v_nop
	v_mul_f32_e32 v4, 0x3fb8aa3b, v5
	v_exp_f32_e32 v26, v4
	s_delay_alu instid0(TRANS32_DEP_2) | instskip(SKIP_1) | instid1(VALU_DEP_1)
	v_pk_add_f32 v[20:21], v[2:3], v[18:19]
	s_wait_dscnt 0x0
	v_dual_mov_b32 v5, v24 :: v_dual_mov_b32 v4, v21
	s_delay_alu instid0(TRANS32_DEP_1) | instid1(VALU_DEP_1)
	v_pk_mul_f32 v[28:29], v[4:5], v[26:27]
	s_delay_alu instid0(VALU_DEP_1) | instskip(NEXT) | instid1(VALU_DEP_1)
	v_dual_mul_f32 v7, 0x3fb8aa3b, v6 :: v_dual_mov_b32 v6, v29
	v_exp_f32_e32 v24, v7
	s_delay_alu instid0(VALU_DEP_1) | instskip(SKIP_2) | instid1(TRANS32_DEP_1)
	v_pk_fma_f32 v[22:23], v[4:5], v[26:27], v[6:7]
	v_mul_f32_e32 v6, v17, v9
	v_pk_mul_f32 v[4:5], v[2:3], v[18:19]
	v_mov_b32_e32 v27, v24
	ds_load_2addr_b32 v[16:17], v16 offset0:8 offset1:16
	v_dual_mov_b32 v5, v22 :: v_dual_mul_f32 v25, v25, v6
	s_delay_alu instid0(VALU_DEP_1) | instskip(NEXT) | instid1(VALU_DEP_2)
	v_pk_mul_f32 v[6:7], v[4:5], v[26:27]
	v_pk_fma_f32 v[30:31], v[4:5], v[26:27], v[24:25]
	s_delay_alu instid0(VALU_DEP_2) | instskip(NEXT) | instid1(VALU_DEP_2)
	v_pk_mul_f32 v[8:9], v[6:7], v[24:25]
	v_mov_b32_dpp v3, v31 row_shr:1 row_mask:0xf bank_mask:0xf
	s_delay_alu instid0(VALU_DEP_2) | instskip(NEXT) | instid1(VALU_DEP_1)
	v_mov_b32_dpp v5, v8 row_shr:1 row_mask:0xf bank_mask:0xf
	v_dual_fma_f32 v3, v8, v3, v31 :: v_dual_mul_f32 v5, v8, v5
	s_delay_alu instid0(VALU_DEP_1) | instskip(NEXT) | instid1(VALU_DEP_1)
	v_dual_cndmask_b32 v3, v3, v31, s12 :: v_dual_cndmask_b32 v5, v5, v8, s12
	v_mov_b32_dpp v7, v3 row_shr:2 row_mask:0xf bank_mask:0xf
	s_delay_alu instid0(VALU_DEP_1) | instskip(NEXT) | instid1(VALU_DEP_1)
	v_fma_f32 v7, v5, v7, v3
	v_cndmask_b32_e64 v3, v3, v7, s13
	v_mov_b32_dpp v9, v5 row_shr:2 row_mask:0xf bank_mask:0xf
	s_delay_alu instid0(VALU_DEP_1) | instskip(NEXT) | instid1(VALU_DEP_3)
	v_mul_f32_e32 v9, v5, v9
	v_mov_b32_dpp v7, v3 row_shr:4 row_mask:0xf bank_mask:0xf
	s_delay_alu instid0(VALU_DEP_2) | instskip(NEXT) | instid1(VALU_DEP_1)
	v_cndmask_b32_e64 v5, v5, v9, s13
	v_fma_f32 v7, v5, v7, v3
	s_delay_alu instid0(VALU_DEP_1) | instskip(SKIP_1) | instid1(VALU_DEP_1)
	v_cndmask_b32_e64 v3, v3, v7, s14
	v_mov_b32_dpp v9, v5 row_shr:4 row_mask:0xf bank_mask:0xf
	v_mul_f32_e32 v9, v5, v9
	s_delay_alu instid0(VALU_DEP_3) | instskip(NEXT) | instid1(VALU_DEP_2)
	v_mov_b32_dpp v7, v3 row_shr:8 row_mask:0xf bank_mask:0xf
	v_cndmask_b32_e64 v5, v5, v9, s14
	s_delay_alu instid0(VALU_DEP_1) | instskip(NEXT) | instid1(VALU_DEP_1)
	v_fma_f32 v7, v5, v7, v3
	v_cndmask_b32_e64 v7, v3, v7, s15
	v_mov_b32_dpp v9, v5 row_shr:8 row_mask:0xf bank_mask:0xf
	ds_swizzle_b32 v3, v7 offset:swizzle(BROADCAST,32,15)
	v_mul_f32_e32 v9, v5, v9
	s_delay_alu instid0(VALU_DEP_1) | instskip(SKIP_1) | instid1(VALU_DEP_1)
	v_cndmask_b32_e64 v9, v5, v9, s15
	s_wait_dscnt 0x0
	v_fma_f32 v20, v9, v3, v7
	s_delay_alu instid0(VALU_DEP_1) | instskip(SKIP_3) | instid1(VALU_DEP_1)
	v_cndmask_b32_e64 v3, v20, v7, s16
	ds_swizzle_b32 v5, v9 offset:swizzle(BROADCAST,32,15)
	s_wait_dscnt 0x0
	v_mul_f32_e32 v23, v9, v5
	v_cndmask_b32_e64 v5, v23, v9, s16
	s_and_saveexec_b32 s47, s10
; %bb.42:                               ;   in Loop: Header=BB6_20 Depth=1
	v_dual_cndmask_b32 v7, v20, v7, s16 :: v_dual_cndmask_b32 v9, v23, v9, s16
	ds_store_2addr_b32 v39, v9, v7 offset1:1
; %bb.43:                               ;   in Loop: Header=BB6_20 Depth=1
	s_or_b32 exec_lo, exec_lo, s47
	s_wait_dscnt 0x0
	s_barrier_signal -1
	s_barrier_wait -1
	s_and_saveexec_b32 s47, s0
	s_cbranch_execz .LBB6_45
; %bb.44:                               ;   in Loop: Header=BB6_20 Depth=1
	ds_load_2addr_b32 v[32:33], v42 offset1:1
	s_wait_dscnt 0x0
	v_mov_b32_dpp v7, v32 row_shr:1 row_mask:0xf bank_mask:0xf
	v_mov_b32_dpp v9, v33 row_shr:1 row_mask:0xf bank_mask:0xf
	s_delay_alu instid0(VALU_DEP_1) | instskip(NEXT) | instid1(VALU_DEP_1)
	v_dual_mul_f32 v7, v32, v7 :: v_dual_fma_f32 v9, v32, v9, v33
	v_dual_cndmask_b32 v7, v7, v32, s17 :: v_dual_cndmask_b32 v9, v9, v33, s17
	s_delay_alu instid0(VALU_DEP_1) | instskip(NEXT) | instid1(VALU_DEP_2)
	v_mov_b32_dpp v20, v7 row_shr:2 row_mask:0xf bank_mask:0xf
	v_mov_b32_dpp v23, v9 row_shr:2 row_mask:0xf bank_mask:0xf
	s_delay_alu instid0(VALU_DEP_1) | instskip(NEXT) | instid1(VALU_DEP_1)
	v_dual_mul_f32 v20, v7, v20 :: v_dual_fma_f32 v23, v7, v23, v9
	v_dual_cndmask_b32 v7, v7, v20, s18 :: v_dual_cndmask_b32 v9, v9, v23, s18
	ds_store_2addr_b32 v42, v7, v9 offset1:1
.LBB6_45:                               ;   in Loop: Header=BB6_20 Depth=1
	s_or_b32 exec_lo, exec_lo, s47
	s_wait_dscnt 0x0
	s_barrier_signal -1
	s_barrier_wait -1
                                        ; implicit-def: $vgpr32
	s_and_saveexec_b32 s47, s1
	s_cbranch_execz .LBB6_47
; %bb.46:                               ;   in Loop: Header=BB6_20 Depth=1
	ds_load_2addr_b32 v[32:33], v41 offset1:1
	s_wait_dscnt 0x0
	v_dual_mul_f32 v7, v5, v32 :: v_dual_fmac_f32 v3, v5, v33
	s_delay_alu instid0(VALU_DEP_1)
	v_mov_b32_e32 v5, v7
.LBB6_47:                               ;   in Loop: Header=BB6_20 Depth=1
	s_or_b32 exec_lo, exec_lo, s47
	ds_bpermute_b32 v5, v40, v5
	ds_bpermute_b32 v7, v40, v3
	v_mov_b32_e32 v3, v44
	s_and_saveexec_b32 s47, s2
	s_delay_alu instid0(SALU_CYCLE_1)
	s_xor_b32 s47, exec_lo, s47
	s_cbranch_execz .LBB6_49
; %bb.48:                               ;   in Loop: Header=BB6_20 Depth=1
	s_wait_dscnt 0x0
	v_dual_cndmask_b32 v3, v7, v33, s11 :: v_dual_mov_b32 v6, v18
	v_mov_b32_e32 v7, v26
	;;#ASMSTART
	;;#ASMEND
                                        ; implicit-def: $vgpr30_vgpr31
                                        ; implicit-def: $vgpr20_vgpr21
                                        ; implicit-def: $vgpr22_vgpr23
	s_delay_alu instid0(VALU_DEP_2) | instskip(NEXT) | instid1(VALU_DEP_1)
	v_dual_fmac_f32 v44, v2, v3 :: v_dual_cndmask_b32 v3, v5, v32, s11
	v_dual_fmac_f32 v19, v44, v18 :: v_dual_mul_f32 v2, v2, v3
	s_delay_alu instid0(VALU_DEP_1) | instskip(NEXT) | instid1(VALU_DEP_1)
	v_dual_mov_b32 v3, v19 :: v_dual_mov_b32 v5, v19
	v_pk_fma_f32 v[6:7], v[2:3], v[6:7], v[28:29]
	s_delay_alu instid0(VALU_DEP_1) | instskip(NEXT) | instid1(VALU_DEP_1)
	v_dual_mul_f32 v4, v2, v18 :: v_dual_fmac_f32 v25, v7, v24
	v_mul_f32_e32 v6, v4, v26
	s_delay_alu instid0(VALU_DEP_2) | instskip(NEXT) | instid1(VALU_DEP_2)
	v_dual_mov_b32 v3, v44 :: v_dual_mov_b32 v9, v25
	v_mul_f32_e32 v8, v6, v24
.LBB6_49:                               ;   in Loop: Header=BB6_20 Depth=1
	s_and_not1_saveexec_b32 s47, s47
	s_cbranch_execz .LBB6_51
; %bb.50:                               ;   in Loop: Header=BB6_20 Depth=1
	s_wait_dscnt 0x1
	v_dual_mov_b32 v9, v31 :: v_dual_mov_b32 v5, v21
	s_wait_dscnt 0x0
	v_mov_b32_e32 v7, v22
.LBB6_51:                               ;   in Loop: Header=BB6_20 Depth=1
	s_or_b32 exec_lo, exec_lo, s47
	v_add_nc_u32_e32 v18, 0x4000, v43
	v_add_nc_u32_e32 v19, 0x4008, v43
	s_wait_dscnt 0x1
	scratch_store_b128 off, v[2:5], off
	s_wait_dscnt 0x0
	scratch_store_b128 off, v[6:9], off offset:16
	s_wait_storecnt 0x0
	s_barrier_signal -1
	s_barrier_wait -1
	ds_load_2addr_b32 v[20:21], v18 offset1:1
	ds_load_2addr_b32 v[18:19], v19 offset1:1
	s_wait_xcnt 0x0
	s_and_saveexec_b32 s47, s9
	s_cbranch_execz .LBB6_19
; %bb.52:                               ;   in Loop: Header=BB6_20 Depth=1
	scratch_load_b64 v[22:23], v38, off
	s_add_co_i32 s49, s34, s46
	s_wait_loadcnt 0x0
	v_dual_mov_b32 v24, s49 :: v_dual_mul_f32 v16, v16, v22
	v_fmac_f32_e32 v23, v17, v22
	v_add_nc_u32_e64 v22, 0x9000, s39
	s_clause 0x1
	global_store_b32 v24, v16, s[28:29] scale_offset
	global_store_b32 v24, v23, s[30:31] scale_offset
	ds_store_2addr_b32 v22, v16, v23 offset0:8 offset1:16
	s_branch .LBB6_19
.LBB6_53:                               ;   in Loop: Header=BB6_20 Depth=1
                                        ; implicit-def: $sgpr50_sgpr51
                                        ; implicit-def: $vgpr2
	s_branch .LBB6_23
.LBB6_54:
	s_add_nc_u64 s[0:1], s[26:27], s[44:45]
	s_delay_alu instid0(SALU_CYCLE_1) | instskip(NEXT) | instid1(SALU_CYCLE_1)
	s_add_nc_u64 s[0:1], s[0:1], s[40:41]
	v_lshl_add_u64 v[2:3], v[10:11], 2, s[0:1]
	s_and_saveexec_b32 s0, s4
	s_cbranch_execnz .LBB6_62
; %bb.55:
	s_or_b32 exec_lo, exec_lo, s0
	s_and_saveexec_b32 s0, s6
	s_cbranch_execnz .LBB6_63
.LBB6_56:
	s_or_b32 exec_lo, exec_lo, s0
	s_and_saveexec_b32 s0, s7
	s_cbranch_execnz .LBB6_64
.LBB6_57:
	s_or_b32 exec_lo, exec_lo, s0
	s_and_saveexec_b32 s0, s8
	s_cbranch_execz .LBB6_59
.LBB6_58:
	global_store_b32 v[2:3], v13, off offset:12
.LBB6_59:
	s_wait_xcnt 0x0
	s_or_b32 exec_lo, exec_lo, s0
	s_add_co_i32 s19, s19, -1
	v_cmp_gt_u32_e32 vcc_lo, 8, v0
	s_cmp_eq_u32 s34, s19
	s_cselect_b32 s0, -1, 0
	s_delay_alu instid0(SALU_CYCLE_1) | instskip(NEXT) | instid1(SALU_CYCLE_1)
	s_and_b32 s0, s0, vcc_lo
	s_and_saveexec_b32 s1, s0
	s_cbranch_execz .LBB6_61
; %bb.60:
	v_lshl_add_u32 v1, v0, 2, 0
	v_add_nc_u32_e32 v0, s42, v0
	ds_load_b32 v1, v1 offset:36928
	s_wait_dscnt 0x0
	global_store_b32 v0, v1, s[24:25] scale_offset
.LBB6_61:
	s_endpgm
.LBB6_62:
	global_store_b32 v[2:3], v14, off
	s_wait_xcnt 0x0
	s_or_b32 exec_lo, exec_lo, s0
	s_and_saveexec_b32 s0, s6
	s_cbranch_execz .LBB6_56
.LBB6_63:
	global_store_b32 v[2:3], v15, off offset:4
	s_wait_xcnt 0x0
	s_or_b32 exec_lo, exec_lo, s0
	s_and_saveexec_b32 s0, s7
	s_cbranch_execz .LBB6_57
.LBB6_64:
	global_store_b32 v[2:3], v12, off offset:8
	s_wait_xcnt 0x0
	s_or_b32 exec_lo, exec_lo, s0
	s_and_saveexec_b32 s0, s8
	s_cbranch_execnz .LBB6_58
	s_branch .LBB6_59
	.section	.rodata,"a",@progbits
	.p2align	6, 0x0
	.amdhsa_kernel _Z26selective_scan_vllm_kernelI18SSMFwdKernelTraitsILi128ELi4ELi8ELb0ELb1ELb0EEEv13SSMParamsBase
		.amdhsa_group_segment_fixed_size 0
		.amdhsa_private_segment_fixed_size 48
		.amdhsa_kernarg_size 144
		.amdhsa_user_sgpr_count 2
		.amdhsa_user_sgpr_dispatch_ptr 0
		.amdhsa_user_sgpr_queue_ptr 0
		.amdhsa_user_sgpr_kernarg_segment_ptr 1
		.amdhsa_user_sgpr_dispatch_id 0
		.amdhsa_user_sgpr_kernarg_preload_length 0
		.amdhsa_user_sgpr_kernarg_preload_offset 0
		.amdhsa_user_sgpr_private_segment_size 0
		.amdhsa_wavefront_size32 1
		.amdhsa_uses_dynamic_stack 0
		.amdhsa_enable_private_segment 1
		.amdhsa_system_sgpr_workgroup_id_x 1
		.amdhsa_system_sgpr_workgroup_id_y 1
		.amdhsa_system_sgpr_workgroup_id_z 0
		.amdhsa_system_sgpr_workgroup_info 0
		.amdhsa_system_vgpr_workitem_id 0
		.amdhsa_next_free_vgpr 45
		.amdhsa_next_free_sgpr 56
		.amdhsa_named_barrier_count 0
		.amdhsa_reserve_vcc 1
		.amdhsa_float_round_mode_32 0
		.amdhsa_float_round_mode_16_64 0
		.amdhsa_float_denorm_mode_32 3
		.amdhsa_float_denorm_mode_16_64 3
		.amdhsa_fp16_overflow 0
		.amdhsa_memory_ordered 1
		.amdhsa_forward_progress 1
		.amdhsa_inst_pref_size 33
		.amdhsa_round_robin_scheduling 0
		.amdhsa_exception_fp_ieee_invalid_op 0
		.amdhsa_exception_fp_denorm_src 0
		.amdhsa_exception_fp_ieee_div_zero 0
		.amdhsa_exception_fp_ieee_overflow 0
		.amdhsa_exception_fp_ieee_underflow 0
		.amdhsa_exception_fp_ieee_inexact 0
		.amdhsa_exception_int_div_zero 0
	.end_amdhsa_kernel
	.section	.text._Z26selective_scan_vllm_kernelI18SSMFwdKernelTraitsILi128ELi4ELi8ELb0ELb1ELb0EEEv13SSMParamsBase,"axG",@progbits,_Z26selective_scan_vllm_kernelI18SSMFwdKernelTraitsILi128ELi4ELi8ELb0ELb1ELb0EEEv13SSMParamsBase,comdat
.Lfunc_end6:
	.size	_Z26selective_scan_vllm_kernelI18SSMFwdKernelTraitsILi128ELi4ELi8ELb0ELb1ELb0EEEv13SSMParamsBase, .Lfunc_end6-_Z26selective_scan_vllm_kernelI18SSMFwdKernelTraitsILi128ELi4ELi8ELb0ELb1ELb0EEEv13SSMParamsBase
                                        ; -- End function
	.set _Z26selective_scan_vllm_kernelI18SSMFwdKernelTraitsILi128ELi4ELi8ELb0ELb1ELb0EEEv13SSMParamsBase.num_vgpr, 45
	.set _Z26selective_scan_vllm_kernelI18SSMFwdKernelTraitsILi128ELi4ELi8ELb0ELb1ELb0EEEv13SSMParamsBase.num_agpr, 0
	.set _Z26selective_scan_vllm_kernelI18SSMFwdKernelTraitsILi128ELi4ELi8ELb0ELb1ELb0EEEv13SSMParamsBase.numbered_sgpr, 56
	.set _Z26selective_scan_vllm_kernelI18SSMFwdKernelTraitsILi128ELi4ELi8ELb0ELb1ELb0EEEv13SSMParamsBase.num_named_barrier, 0
	.set _Z26selective_scan_vllm_kernelI18SSMFwdKernelTraitsILi128ELi4ELi8ELb0ELb1ELb0EEEv13SSMParamsBase.private_seg_size, 48
	.set _Z26selective_scan_vllm_kernelI18SSMFwdKernelTraitsILi128ELi4ELi8ELb0ELb1ELb0EEEv13SSMParamsBase.uses_vcc, 1
	.set _Z26selective_scan_vllm_kernelI18SSMFwdKernelTraitsILi128ELi4ELi8ELb0ELb1ELb0EEEv13SSMParamsBase.uses_flat_scratch, 0
	.set _Z26selective_scan_vllm_kernelI18SSMFwdKernelTraitsILi128ELi4ELi8ELb0ELb1ELb0EEEv13SSMParamsBase.has_dyn_sized_stack, 0
	.set _Z26selective_scan_vllm_kernelI18SSMFwdKernelTraitsILi128ELi4ELi8ELb0ELb1ELb0EEEv13SSMParamsBase.has_recursion, 0
	.set _Z26selective_scan_vllm_kernelI18SSMFwdKernelTraitsILi128ELi4ELi8ELb0ELb1ELb0EEEv13SSMParamsBase.has_indirect_call, 0
	.section	.AMDGPU.csdata,"",@progbits
; Kernel info:
; codeLenInByte = 4124
; TotalNumSgprs: 58
; NumVgprs: 45
; ScratchSize: 48
; MemoryBound: 0
; FloatMode: 240
; IeeeMode: 1
; LDSByteSize: 0 bytes/workgroup (compile time only)
; SGPRBlocks: 0
; VGPRBlocks: 2
; NumSGPRsForWavesPerEU: 58
; NumVGPRsForWavesPerEU: 45
; NamedBarCnt: 0
; Occupancy: 16
; WaveLimiterHint : 0
; COMPUTE_PGM_RSRC2:SCRATCH_EN: 1
; COMPUTE_PGM_RSRC2:USER_SGPR: 2
; COMPUTE_PGM_RSRC2:TRAP_HANDLER: 0
; COMPUTE_PGM_RSRC2:TGID_X_EN: 1
; COMPUTE_PGM_RSRC2:TGID_Y_EN: 1
; COMPUTE_PGM_RSRC2:TGID_Z_EN: 0
; COMPUTE_PGM_RSRC2:TIDIG_COMP_CNT: 0
	.section	.text._Z26selective_scan_vllm_kernelI18SSMFwdKernelTraitsILi128ELi4ELi8ELb0ELb0ELb1EEEv13SSMParamsBase,"axG",@progbits,_Z26selective_scan_vllm_kernelI18SSMFwdKernelTraitsILi128ELi4ELi8ELb0ELb0ELb1EEEv13SSMParamsBase,comdat
	.protected	_Z26selective_scan_vllm_kernelI18SSMFwdKernelTraitsILi128ELi4ELi8ELb0ELb0ELb1EEEv13SSMParamsBase ; -- Begin function _Z26selective_scan_vllm_kernelI18SSMFwdKernelTraitsILi128ELi4ELi8ELb0ELb0ELb1EEEv13SSMParamsBase
	.globl	_Z26selective_scan_vllm_kernelI18SSMFwdKernelTraitsILi128ELi4ELi8ELb0ELb0ELb1EEEv13SSMParamsBase
	.p2align	8
	.type	_Z26selective_scan_vllm_kernelI18SSMFwdKernelTraitsILi128ELi4ELi8ELb0ELb0ELb1EEEv13SSMParamsBase,@function
_Z26selective_scan_vllm_kernelI18SSMFwdKernelTraitsILi128ELi4ELi8ELb0ELb0ELb1EEEv13SSMParamsBase: ; @_Z26selective_scan_vllm_kernelI18SSMFwdKernelTraitsILi128ELi4ELi8ELb0ELb0ELb1EEEv13SSMParamsBase
; %bb.0:
	s_clause 0x1
	s_load_b32 s7, s[0:1], 0x4
	s_load_b32 s33, s[0:1], 0x10
	s_bfe_u32 s2, ttmp6, 0x4000c
	s_and_b32 s3, ttmp6, 15
	s_add_co_i32 s2, s2, 1
	s_getreg_b32 s9, hwreg(HW_REG_IB_STS2, 6, 4)
	s_mul_i32 s2, ttmp9, s2
	s_clause 0x3
	s_load_b256 s[24:31], s[0:1], 0x18
	s_load_b128 s[36:39], s[0:1], 0x38
	s_load_b64 s[4:5], s[0:1], 0x48
	s_load_b256 s[16:23], s[0:1], 0x58
	s_add_co_i32 s3, s3, s2
	s_cmp_eq_u32 s9, 0
	s_clause 0x1
	s_load_b64 s[44:45], s[0:1], 0x88
	s_load_b128 s[12:15], s[0:1], 0x78
	s_cselect_b32 s6, ttmp9, s3
	s_mov_b32 s35, 0
	s_wait_xcnt 0x0
	v_cmp_eq_u32_e64 s1, 0, v0
	s_abs_i32 s34, s6
	s_ashr_i32 s10, s6, 31
	s_wait_kmcnt 0x0
	s_abs_i32 s8, s7
	s_ashr_i32 s11, s7, 31
	s_cvt_f32_u32 s2, s8
	s_sub_co_i32 s3, 0, s8
	s_delay_alu instid0(SALU_CYCLE_2) | instskip(SKIP_1) | instid1(TRANS32_DEP_1)
	v_rcp_iflag_f32_e32 v1, s2
	v_nop
	v_readfirstlane_b32 s2, v1
	s_mul_f32 s0, s2, 0x4f7ffffe
	s_delay_alu instid0(SALU_CYCLE_3) | instskip(SKIP_1) | instid1(SALU_CYCLE_2)
	s_cvt_u32_f32 s2, s0
	v_cmp_ne_u32_e64 s0, 0, v0
	s_mul_i32 s3, s3, s2
	s_delay_alu instid0(SALU_CYCLE_1) | instskip(NEXT) | instid1(SALU_CYCLE_1)
	s_mul_hi_u32 s3, s2, s3
	s_add_co_i32 s2, s2, s3
	s_mov_b32 s3, s35
	s_delay_alu instid0(SALU_CYCLE_1)
	s_mul_u64 s[2:3], s[34:35], s[2:3]
	s_and_saveexec_b32 s2, s1
; %bb.1:
	v_mov_b64_e32 v[2:3], 0x30000007f
	v_mov_b32_e32 v1, 0
	ds_store_b64 v1, v[2:3] offset:36960
; %bb.2:
	s_or_b32 exec_lo, exec_lo, s2
	s_bfe_u32 s2, ttmp6, 0x40010
	s_bfe_u32 s40, ttmp6, 0x40004
	s_add_co_i32 s2, s2, 1
	v_lshlrev_b32_e32 v16, 2, v0
	s_mul_i32 s2, ttmp7, s2
	s_wait_dscnt 0x0
	s_add_co_i32 s40, s40, s2
	s_cmp_eq_u32 s9, 0
	s_mul_i32 s2, s3, s8
	s_cselect_b32 s40, ttmp7, s40
	s_sub_co_i32 s2, s34, s2
	s_xor_b32 s9, s10, s11
	s_add_co_i32 s10, s3, 1
	s_sub_co_i32 s11, s2, s8
	s_cmp_ge_u32 s2, s8
	s_barrier_signal -1
	s_cselect_b32 s3, s10, s3
	s_cselect_b32 s2, s11, s2
	s_add_co_i32 s10, s3, 1
	s_cmp_ge_u32 s2, s8
	s_barrier_wait -1
	s_cselect_b32 s2, s10, s3
	s_lshl_b32 s34, s40, 9
	s_xor_b32 s2, s2, s9
	v_dual_mov_b32 v1, 0 :: v_dual_bitop2_b32 v6, s34, v16 bitop3:0x54
	s_sub_co_i32 s41, s2, s9
	s_delay_alu instid0(SALU_CYCLE_1) | instskip(SKIP_1) | instid1(VALU_DEP_1)
	s_mul_i32 s7, s41, s7
	s_mul_i32 s2, s41, s12
	v_ashrrev_i32_e32 v7, 31, v6
	s_ashr_i32 s3, s2, 31
	s_sub_co_i32 s46, s6, s7
	s_lshl_b64 s[42:43], s[2:3], 2
	s_mul_i32 s2, s46, s13
	v_lshlrev_b64_e32 v[2:3], 2, v[6:7]
	s_ashr_i32 s3, s2, 31
	s_add_nc_u64 s[8:9], s[26:27], s[42:43]
	s_lshl_b64 s[26:27], s[2:3], 2
	s_ashr_i32 s47, s46, 31
	s_add_nc_u64 s[2:3], s[8:9], s[26:27]
	s_add_nc_u64 s[8:9], s[24:25], s[42:43]
	v_add_nc_u64_e32 v[12:13], s[2:3], v[2:3]
	s_add_nc_u64 s[2:3], s[8:9], s[26:27]
	s_lshl_b64 s[12:13], s[46:47], 2
	v_add_nc_u64_e32 v[14:15], s[2:3], v[2:3]
	global_load_b128 v[2:5], v[12:13], off
	global_load_b128 v[8:11], v[14:15], off
	s_add_nc_u64 s[4:5], s[4:5], s[12:13]
	v_lshl_add_u32 v30, v0, 4, 0
	s_load_b32 s24, s[4:5], 0x0
	s_mul_i32 s25, s6, s33
	v_mbcnt_lo_u32_b32 v14, -1, 0
	v_dual_lshrrev_b32 v17, 2, v0 :: v_dual_bitop2_b32 v15, 31, v0 bitop3:0x54
	ds_load_b64 v[12:13], v1 offset:36960
	v_add_nc_u32_e32 v31, 0x820, v30
	v_add_nc_u32_e32 v32, 0x828, v30
	s_add_nc_u64 s[12:13], s[38:39], s[12:13]
	s_wait_xcnt 0x0
	v_cmp_eq_u32_e64 s4, v0, v15
	v_sub_co_u32 v15, s5, v14, 1
	v_dual_lshlrev_b32 v18, 3, v0 :: v_dual_bitop2_b32 v19, 15, v14 bitop3:0x40
	v_and_b32_e32 v17, 24, v17
	s_delay_alu instid0(VALU_DEP_3) | instskip(SKIP_1) | instid1(VALU_DEP_4)
	v_cmp_gt_i32_e32 vcc_lo, 0, v15
	v_and_b32_e32 v20, 16, v14
	v_sub_nc_u32_e32 v18, 0, v18
	s_delay_alu instid0(VALU_DEP_4)
	v_dual_add_nc_u32 v34, 0, v17 :: v_dual_bitop2_b32 v21, 3, v14 bitop3:0x40
	v_cndmask_b32_e32 v14, v15, v14, vcc_lo
	s_mul_i32 s14, s41, s14
	s_mul_i32 s41, s41, s44
	s_lshl_b32 s44, s46, 3
	s_cmp_lg_u32 s40, 0
	v_lshlrev_b32_e32 v35, 2, v14
	v_cmp_gt_u32_e64 s2, 4, v0
	v_cmp_lt_u32_e64 s3, 31, v0
	v_add_nc_u32_e32 v33, 0x1020, v30
	v_cmp_eq_u32_e64 s6, 0, v19
	v_cmp_lt_u32_e64 s7, 1, v19
	v_cmp_lt_u32_e64 s8, 3, v19
	;; [unrolled: 1-line block ×3, first 2 shown]
	v_cmp_eq_u32_e64 s10, 0, v20
	v_cmp_eq_u32_e64 s11, 0, v21
	v_add_nc_u32_e32 v36, -8, v34
	v_add_nc_u32_e32 v38, v30, v18
	s_wait_loadcnt 0x1
	s_wait_kmcnt 0x0
	v_pk_add_f32 v[2:3], v[2:3], s[24:25] op_sel_hi:[1,0]
	v_pk_add_f32 v[4:5], v[4:5], s[24:25] op_sel_hi:[1,0]
	s_wait_loadcnt 0x0
	ds_store_2addr_b32 v30, v8, v9 offset0:8 offset1:9
	ds_store_2addr_b32 v31, v2, v3 offset1:1
	ds_store_2addr_b32 v30, v10, v11 offset0:10 offset1:11
	ds_store_2addr_b32 v32, v4, v5 offset1:1
	s_wait_dscnt 0x0
	s_barrier_signal -1
	s_barrier_wait -1
	s_load_b32 s38, s[12:13], 0x0
	ds_load_2addr_b32 v[2:3], v30 offset0:8 offset1:9
	ds_load_2addr_b32 v[4:5], v30 offset0:10 offset1:11
	v_lshlrev_b32_e32 v9, 3, v13
	v_add3_u32 v8, s14, s34, v16
	s_mul_i32 s14, s46, s45
	s_cselect_b32 s34, -1, 0
	s_ashr_i32 s45, s44, 31
	s_wait_xcnt 0x0
	v_cmp_lt_u32_e64 s12, 1, v21
	v_cmp_eq_u32_e64 s13, v0, v12
	v_mov_b32_e32 v37, v9
	s_add_co_i32 s14, s14, s41
	s_lshl_b64 s[44:45], s[44:45], 2
	s_ashr_i32 s41, s40, 31
	s_lshl_b32 s24, s25, 3
	s_add_nc_u64 s[28:29], s[28:29], s[44:45]
	s_mov_b32 s46, 0
	s_wait_dscnt 0x1
	s_wait_kmcnt 0x0
	v_pk_mul_f32 v[2:3], s[38:39], v[2:3] op_sel_hi:[0,1]
	s_wait_dscnt 0x0
	v_pk_mul_f32 v[4:5], s[38:39], v[4:5] op_sel_hi:[0,1]
	s_mov_b32 s38, s14
	s_branch .LBB7_4
.LBB7_3:                                ;   in Loop: Header=BB7_4 Depth=1
	s_wait_xcnt 0x0
	s_or_b32 exec_lo, exec_lo, s25
	v_dual_mov_b32 v18, v19 :: v_dual_add_nc_u32 v8, s15, v8
	s_addk_co_i32 s46, 0x800
	s_add_co_i32 s35, s35, 4
	s_add_co_i32 s38, s38, 1
	s_delay_alu instid0(VALU_DEP_1)
	v_pk_fma_f32 v[10:11], v[18:19], v[12:13], v[10:11] op_sel_hi:[0,1,1]
	v_pk_fma_f32 v[12:13], v[18:19], v[14:15], v[16:17] op_sel_hi:[0,1,1]
	s_add_co_i32 s24, s24, s33
	s_cmp_eq_u32 s46, 0x4000
	s_add_nc_u64 s[28:29], s[28:29], 4
	s_wait_dscnt 0x1
	v_pk_fma_f32 v[2:3], v[20:21], v[10:11], v[2:3]
	s_wait_dscnt 0x0
	v_pk_fma_f32 v[4:5], v[22:23], v[12:13], v[4:5]
	s_wait_storecnt 0x0
	s_barrier_signal -1
	s_barrier_wait -1
	s_cbranch_scc1 .LBB7_22
.LBB7_4:                                ; =>This Inner Loop Header: Depth=1
	s_and_saveexec_b32 s47, s1
	s_cbranch_execz .LBB7_9
; %bb.5:                                ;   in Loop: Header=BB7_4 Depth=1
	s_and_b32 vcc_lo, exec_lo, s34
	s_cbranch_vccz .LBB7_21
; %bb.6:                                ;   in Loop: Header=BB7_4 Depth=1
	s_ashr_i32 s25, s24, 31
	s_delay_alu instid0(SALU_CYCLE_1) | instskip(NEXT) | instid1(SALU_CYCLE_1)
	s_add_nc_u64 s[44:45], s[40:41], s[24:25]
	s_lshl_b64 s[44:45], s[44:45], 2
	s_delay_alu instid0(SALU_CYCLE_1)
	s_add_nc_u64 s[48:49], s[20:21], s[44:45]
	s_add_nc_u64 s[44:45], s[22:23], s[44:45]
	global_load_b32 v9, v1, s[48:49] offset:-4
	s_add_nc_u64 s[44:45], s[44:45], -4
	s_cbranch_execnz .LBB7_8
.LBB7_7:                                ;   in Loop: Header=BB7_4 Depth=1
	s_ashr_i32 s39, s38, 31
	s_wait_loadcnt 0x0
	v_mov_b32_e32 v9, 1.0
	s_lshl_b64 s[44:45], s[38:39], 2
	s_delay_alu instid0(SALU_CYCLE_1)
	s_add_nc_u64 s[44:45], s[16:17], s[44:45]
.LBB7_8:                                ;   in Loop: Header=BB7_4 Depth=1
	global_load_b32 v10, v1, s[44:45]
	v_add_nc_u32_e64 v11, 0x9000, s35
	s_wait_loadcnt 0x0
	ds_store_2addr_b32 v11, v9, v10 offset0:8 offset1:16
.LBB7_9:                                ;   in Loop: Header=BB7_4 Depth=1
	s_or_b32 exec_lo, exec_lo, s47
	v_ashrrev_i32_e32 v9, 31, v8
	s_delay_alu instid0(VALU_DEP_1) | instskip(NEXT) | instid1(VALU_DEP_1)
	v_lshlrev_b64_e32 v[10:11], 2, v[8:9]
	v_add_nc_u64_e32 v[18:19], s[30:31], v[10:11]
	v_add_nc_u64_e32 v[20:21], s[36:37], v[10:11]
	global_load_b128 v[10:13], v[18:19], off
	global_load_b128 v[14:17], v[20:21], off
	s_wait_xcnt 0x1
	v_add_nc_u32_e32 v18, s46, v33
	s_delay_alu instid0(VALU_DEP_1)
	v_add_nc_u32_e32 v9, 0x4000, v18
	v_add_nc_u32_e32 v39, 0x4008, v18
	s_wait_loadcnt 0x1
	ds_store_2addr_b32 v18, v10, v11 offset1:1
	s_wait_loadcnt 0x0
	ds_store_2addr_b32 v9, v14, v15 offset1:1
	ds_store_2addr_b32 v18, v12, v13 offset0:2 offset1:3
	ds_store_2addr_b32 v39, v16, v17 offset1:1
	s_wait_dscnt 0x0
	s_barrier_signal -1
	s_barrier_wait -1
	global_load_b32 v19, v1, s[28:29]
	ds_load_2addr_b32 v[10:11], v18 offset1:1
	ds_load_2addr_b32 v[12:13], v31 offset1:1
	;; [unrolled: 1-line block ×3, first 2 shown]
	ds_load_2addr_b32 v[16:17], v30 offset0:8 offset1:9
	ds_load_2addr_b32 v[20:21], v18 offset0:2 offset1:3
	;; [unrolled: 1-line block ×3, first 2 shown]
	s_wait_dscnt 0x4
	v_pk_mul_f32 v[10:11], v[12:13], v[10:11]
	s_wait_dscnt 0x2
	s_delay_alu instid0(VALU_DEP_1) | instskip(SKIP_3) | instid1(VALU_DEP_2)
	v_pk_mul_f32 v[10:11], v[16:17], v[10:11]
	s_wait_loadcnt 0x0
	v_dual_mul_f32 v18, v13, v19 :: v_dual_mul_f32 v24, v14, v19
	v_dual_mul_f32 v16, v15, v19 :: v_dual_mul_f32 v12, v12, v19
	v_dual_mul_f32 v18, 0x3fb8aa3b, v18 :: v_dual_mul_f32 v13, 0x3fb8aa3b, v24
	s_delay_alu instid0(VALU_DEP_2) | instskip(NEXT) | instid1(VALU_DEP_2)
	v_mul_f32_e32 v17, 0x3fb8aa3b, v12
	v_exp_f32_e32 v42, v18
	s_delay_alu instid0(VALU_DEP_2) | instskip(SKIP_3) | instid1(TRANS32_DEP_2)
	v_exp_f32_e32 v41, v13
	s_wait_dscnt 0x1
	v_nop
	v_mul_f32_e32 v13, v14, v20
	v_fma_f32 v40, v10, v42, v11
	s_wait_dscnt 0x0
	s_delay_alu instid0(VALU_DEP_2) | instskip(NEXT) | instid1(VALU_DEP_2)
	v_mul_f32_e32 v20, v22, v13
	v_mul_f32_e32 v14, v40, v41
	s_delay_alu instid0(VALU_DEP_1) | instskip(SKIP_2) | instid1(VALU_DEP_1)
	v_pk_mul_f32 v[12:13], v[14:15], v[20:21]
	v_exp_f32_e32 v12, v17
	v_mul_f32_e32 v16, 0x3fb8aa3b, v16
	v_exp_f32_e32 v22, v16
	v_nop
	v_pk_add_f32 v[16:17], v[14:15], v[20:21]
	s_delay_alu instid0(TRANS32_DEP_2)
	v_dual_mov_b32 v17, v13 :: v_dual_mul_f32 v13, v12, v42
	s_delay_alu instid0(TRANS32_DEP_1) | instid1(VALU_DEP_1)
	v_pk_mul_f32 v[26:27], v[16:17], v[22:23]
	s_delay_alu instid0(VALU_DEP_1) | instskip(NEXT) | instid1(VALU_DEP_1)
	v_dual_mul_f32 v14, v13, v41 :: v_dual_mov_b32 v18, v27
	v_pk_fma_f32 v[24:25], v[16:17], v[22:23], v[18:19]
	s_delay_alu instid0(VALU_DEP_2) | instskip(NEXT) | instid1(VALU_DEP_2)
	v_mul_f32_e32 v15, v14, v22
	v_mov_b32_dpp v17, v24 row_shr:1 row_mask:0xf bank_mask:0xf
	s_delay_alu instid0(VALU_DEP_1) | instskip(NEXT) | instid1(VALU_DEP_1)
	v_fma_f32 v17, v15, v17, v24
	v_cndmask_b32_e64 v17, v17, v24, s6
	v_mov_b32_dpp v18, v15 row_shr:1 row_mask:0xf bank_mask:0xf
	s_delay_alu instid0(VALU_DEP_2) | instskip(NEXT) | instid1(VALU_DEP_2)
	v_mov_b32_dpp v19, v17 row_shr:2 row_mask:0xf bank_mask:0xf
	v_mul_f32_e32 v18, v15, v18
	s_delay_alu instid0(VALU_DEP_1) | instskip(NEXT) | instid1(VALU_DEP_1)
	v_cndmask_b32_e64 v18, v18, v15, s6
	v_mov_b32_dpp v21, v18 row_shr:2 row_mask:0xf bank_mask:0xf
	s_delay_alu instid0(VALU_DEP_1) | instskip(NEXT) | instid1(VALU_DEP_1)
	v_dual_fma_f32 v19, v18, v19, v17 :: v_dual_mul_f32 v21, v18, v21
	v_dual_cndmask_b32 v17, v17, v19, s7 :: v_dual_cndmask_b32 v18, v18, v21, s7
	s_delay_alu instid0(VALU_DEP_1) | instskip(NEXT) | instid1(VALU_DEP_2)
	v_mov_b32_dpp v19, v17 row_shr:4 row_mask:0xf bank_mask:0xf
	v_mov_b32_dpp v21, v18 row_shr:4 row_mask:0xf bank_mask:0xf
	s_delay_alu instid0(VALU_DEP_1) | instskip(NEXT) | instid1(VALU_DEP_1)
	v_dual_fma_f32 v19, v18, v19, v17 :: v_dual_mul_f32 v21, v18, v21
	v_dual_cndmask_b32 v17, v17, v19, s8 :: v_dual_cndmask_b32 v18, v18, v21, s8
	s_delay_alu instid0(VALU_DEP_1) | instskip(NEXT) | instid1(VALU_DEP_2)
	v_mov_b32_dpp v19, v17 row_shr:8 row_mask:0xf bank_mask:0xf
	v_mov_b32_dpp v21, v18 row_shr:8 row_mask:0xf bank_mask:0xf
	s_delay_alu instid0(VALU_DEP_1) | instskip(NEXT) | instid1(VALU_DEP_1)
	v_dual_fma_f32 v19, v18, v19, v17 :: v_dual_mul_f32 v21, v18, v21
	v_dual_cndmask_b32 v23, v17, v19, s9 :: v_dual_cndmask_b32 v25, v18, v21, s9
	ds_swizzle_b32 v17, v23 offset:swizzle(BROADCAST,32,15)
	v_add_nc_u32_e64 v18, 0x9000, s35
	ds_swizzle_b32 v21, v25 offset:swizzle(BROADCAST,32,15)
	ds_load_2addr_b32 v[18:19], v18 offset0:8 offset1:16
	s_wait_dscnt 0x2
	v_fma_f32 v26, v25, v17, v23
	s_wait_dscnt 0x1
	s_delay_alu instid0(VALU_DEP_1) | instskip(NEXT) | instid1(VALU_DEP_1)
	v_dual_mul_f32 v28, v25, v21 :: v_dual_cndmask_b32 v17, v26, v23, s10
	v_cndmask_b32_e64 v21, v28, v25, s10
	s_and_saveexec_b32 s25, s4
; %bb.10:                               ;   in Loop: Header=BB7_4 Depth=1
	v_dual_cndmask_b32 v23, v26, v23, s10 :: v_dual_cndmask_b32 v25, v28, v25, s10
	ds_store_2addr_b32 v34, v25, v23 offset1:1
; %bb.11:                               ;   in Loop: Header=BB7_4 Depth=1
	s_or_b32 exec_lo, exec_lo, s25
	s_wait_dscnt 0x0
	s_barrier_signal -1
	s_barrier_wait -1
	s_and_saveexec_b32 s25, s2
	s_cbranch_execz .LBB7_13
; %bb.12:                               ;   in Loop: Header=BB7_4 Depth=1
	ds_load_2addr_b32 v[28:29], v38 offset1:1
	s_wait_dscnt 0x0
	v_mov_b32_dpp v23, v28 row_shr:1 row_mask:0xf bank_mask:0xf
	v_mov_b32_dpp v25, v29 row_shr:1 row_mask:0xf bank_mask:0xf
	s_delay_alu instid0(VALU_DEP_1) | instskip(NEXT) | instid1(VALU_DEP_1)
	v_dual_mul_f32 v23, v28, v23 :: v_dual_fma_f32 v25, v28, v25, v29
	v_dual_cndmask_b32 v23, v23, v28, s11 :: v_dual_cndmask_b32 v25, v25, v29, s11
	s_delay_alu instid0(VALU_DEP_1) | instskip(NEXT) | instid1(VALU_DEP_2)
	v_mov_b32_dpp v26, v23 row_shr:2 row_mask:0xf bank_mask:0xf
	v_mov_b32_dpp v28, v25 row_shr:2 row_mask:0xf bank_mask:0xf
	s_delay_alu instid0(VALU_DEP_1) | instskip(NEXT) | instid1(VALU_DEP_1)
	v_dual_mul_f32 v26, v23, v26 :: v_dual_fma_f32 v28, v23, v28, v25
	v_dual_cndmask_b32 v23, v23, v26, s12 :: v_dual_cndmask_b32 v25, v25, v28, s12
	ds_store_2addr_b32 v38, v23, v25 offset1:1
.LBB7_13:                               ;   in Loop: Header=BB7_4 Depth=1
	s_or_b32 exec_lo, exec_lo, s25
	s_wait_dscnt 0x0
	s_barrier_signal -1
	s_barrier_wait -1
                                        ; implicit-def: $vgpr28
	s_and_saveexec_b32 s25, s3
	s_cbranch_execz .LBB7_15
; %bb.14:                               ;   in Loop: Header=BB7_4 Depth=1
	ds_load_2addr_b32 v[28:29], v36 offset1:1
	s_wait_dscnt 0x0
	v_dual_mul_f32 v23, v21, v28 :: v_dual_fmac_f32 v17, v21, v29
	s_delay_alu instid0(VALU_DEP_1)
	v_mov_b32_e32 v21, v23
.LBB7_15:                               ;   in Loop: Header=BB7_4 Depth=1
	s_or_b32 exec_lo, exec_lo, s25
	ds_bpermute_b32 v21, v35, v21
	ds_bpermute_b32 v17, v35, v17
	s_and_saveexec_b32 s25, s0
	s_delay_alu instid0(SALU_CYCLE_1)
	s_xor_b32 s25, exec_lo, s25
	s_cbranch_execz .LBB7_17
; %bb.16:                               ;   in Loop: Header=BB7_4 Depth=1
	s_wait_dscnt 0x0
	v_cndmask_b32_e64 v13, v17, v29, s5
	;;#ASMSTART
	;;#ASMEND
                                        ; implicit-def: $vgpr24_vgpr25
                                        ; implicit-def: $vgpr40
	s_delay_alu instid0(VALU_DEP_1) | instskip(NEXT) | instid1(VALU_DEP_1)
	v_dual_fma_f32 v10, v12, v13, v10 :: v_dual_cndmask_b32 v13, v21, v28, s5
	v_fmac_f32_e32 v11, v10, v42
	s_delay_alu instid0(VALU_DEP_1) | instskip(NEXT) | instid1(VALU_DEP_1)
	v_fmac_f32_e32 v20, v11, v41
	v_fmac_f32_e32 v27, v20, v22
	s_delay_alu instid0(VALU_DEP_1) | instskip(NEXT) | instid1(VALU_DEP_1)
	v_dual_mul_f32 v12, v12, v13 :: v_dual_mov_b32 v21, v27
	v_mul_f32_e32 v13, v12, v42
	s_delay_alu instid0(VALU_DEP_2) | instskip(NEXT) | instid1(VALU_DEP_2)
	v_mov_b64_e32 v[16:17], v[20:21]
	v_mul_f32_e32 v14, v13, v41
	s_delay_alu instid0(VALU_DEP_1)
	v_mul_f32_e32 v15, v14, v22
.LBB7_17:                               ;   in Loop: Header=BB7_4 Depth=1
	s_and_not1_saveexec_b32 s25, s25
	s_cbranch_execz .LBB7_19
; %bb.18:                               ;   in Loop: Header=BB7_4 Depth=1
	s_wait_dscnt 0x0
	v_dual_mov_b32 v17, v24 :: v_dual_mov_b32 v11, v40
.LBB7_19:                               ;   in Loop: Header=BB7_4 Depth=1
	s_or_b32 exec_lo, exec_lo, s25
	s_wait_dscnt 0x1
	v_dual_mov_b32 v20, v12 :: v_dual_mov_b32 v21, v10
	s_delay_alu instid0(VALU_DEP_2)
	v_dual_mov_b32 v22, v13 :: v_dual_mov_b32 v23, v11
	v_dual_mov_b32 v24, v14 :: v_dual_mov_b32 v25, v16
	s_wait_dscnt 0x0
	v_dual_mov_b32 v26, v15 :: v_dual_mov_b32 v27, v17
	s_clause 0x1
	scratch_store_b128 off, v[20:23], off
	scratch_store_b128 off, v[24:27], off offset:16
	s_wait_storecnt 0x0
	s_barrier_signal -1
	s_barrier_wait -1
	s_wait_xcnt 0x1
	ds_load_2addr_b32 v[20:21], v9 offset1:1
	ds_load_2addr_b32 v[22:23], v39 offset1:1
	s_wait_xcnt 0x0
	s_and_saveexec_b32 s25, s13
	s_cbranch_execz .LBB7_3
; %bb.20:                               ;   in Loop: Header=BB7_4 Depth=1
	scratch_load_b64 v[24:25], v37, off
	s_add_co_i32 s39, s40, s24
	s_wait_loadcnt 0x0
	v_dual_mov_b32 v9, s39 :: v_dual_mul_f32 v18, v18, v24
	v_fmac_f32_e32 v25, v19, v24
	v_add_nc_u32_e64 v24, 0x9000, s35
	s_clause 0x1
	global_store_b32 v9, v18, s[20:21] scale_offset
	global_store_b32 v9, v25, s[22:23] scale_offset
	ds_store_2addr_b32 v24, v18, v25 offset0:8 offset1:16
	s_branch .LBB7_3
.LBB7_21:                               ;   in Loop: Header=BB7_4 Depth=1
                                        ; implicit-def: $sgpr44_sgpr45
                                        ; implicit-def: $vgpr9
	s_branch .LBB7_7
.LBB7_22:
	s_add_nc_u64 s[0:1], s[18:19], s[42:43]
	s_add_co_i32 s33, s33, -1
	s_add_nc_u64 s[0:1], s[0:1], s[26:27]
	v_cmp_gt_u32_e32 vcc_lo, 8, v0
	s_cmp_eq_u32 s40, s33
	v_lshl_add_u64 v[6:7], v[6:7], 2, s[0:1]
	s_cselect_b32 s0, -1, 0
	s_delay_alu instid0(SALU_CYCLE_1)
	s_and_b32 s0, s0, vcc_lo
	global_store_b128 v[6:7], v[2:5], off
	s_wait_xcnt 0x0
	s_and_saveexec_b32 s1, s0
	s_cbranch_execz .LBB7_24
; %bb.23:
	v_lshl_add_u32 v1, v0, 2, 0
	v_add_nc_u32_e32 v0, s14, v0
	ds_load_b32 v1, v1 offset:36928
	s_wait_dscnt 0x0
	global_store_b32 v0, v1, s[16:17] scale_offset
.LBB7_24:
	s_endpgm
	.section	.rodata,"a",@progbits
	.p2align	6, 0x0
	.amdhsa_kernel _Z26selective_scan_vllm_kernelI18SSMFwdKernelTraitsILi128ELi4ELi8ELb0ELb0ELb1EEEv13SSMParamsBase
		.amdhsa_group_segment_fixed_size 0
		.amdhsa_private_segment_fixed_size 48
		.amdhsa_kernarg_size 144
		.amdhsa_user_sgpr_count 2
		.amdhsa_user_sgpr_dispatch_ptr 0
		.amdhsa_user_sgpr_queue_ptr 0
		.amdhsa_user_sgpr_kernarg_segment_ptr 1
		.amdhsa_user_sgpr_dispatch_id 0
		.amdhsa_user_sgpr_kernarg_preload_length 0
		.amdhsa_user_sgpr_kernarg_preload_offset 0
		.amdhsa_user_sgpr_private_segment_size 0
		.amdhsa_wavefront_size32 1
		.amdhsa_uses_dynamic_stack 0
		.amdhsa_enable_private_segment 1
		.amdhsa_system_sgpr_workgroup_id_x 1
		.amdhsa_system_sgpr_workgroup_id_y 1
		.amdhsa_system_sgpr_workgroup_id_z 0
		.amdhsa_system_sgpr_workgroup_info 0
		.amdhsa_system_vgpr_workitem_id 0
		.amdhsa_next_free_vgpr 43
		.amdhsa_next_free_sgpr 50
		.amdhsa_named_barrier_count 0
		.amdhsa_reserve_vcc 1
		.amdhsa_float_round_mode_32 0
		.amdhsa_float_round_mode_16_64 0
		.amdhsa_float_denorm_mode_32 3
		.amdhsa_float_denorm_mode_16_64 3
		.amdhsa_fp16_overflow 0
		.amdhsa_memory_ordered 1
		.amdhsa_forward_progress 1
		.amdhsa_inst_pref_size 20
		.amdhsa_round_robin_scheduling 0
		.amdhsa_exception_fp_ieee_invalid_op 0
		.amdhsa_exception_fp_denorm_src 0
		.amdhsa_exception_fp_ieee_div_zero 0
		.amdhsa_exception_fp_ieee_overflow 0
		.amdhsa_exception_fp_ieee_underflow 0
		.amdhsa_exception_fp_ieee_inexact 0
		.amdhsa_exception_int_div_zero 0
	.end_amdhsa_kernel
	.section	.text._Z26selective_scan_vllm_kernelI18SSMFwdKernelTraitsILi128ELi4ELi8ELb0ELb0ELb1EEEv13SSMParamsBase,"axG",@progbits,_Z26selective_scan_vllm_kernelI18SSMFwdKernelTraitsILi128ELi4ELi8ELb0ELb0ELb1EEEv13SSMParamsBase,comdat
.Lfunc_end7:
	.size	_Z26selective_scan_vllm_kernelI18SSMFwdKernelTraitsILi128ELi4ELi8ELb0ELb0ELb1EEEv13SSMParamsBase, .Lfunc_end7-_Z26selective_scan_vllm_kernelI18SSMFwdKernelTraitsILi128ELi4ELi8ELb0ELb0ELb1EEEv13SSMParamsBase
                                        ; -- End function
	.set _Z26selective_scan_vllm_kernelI18SSMFwdKernelTraitsILi128ELi4ELi8ELb0ELb0ELb1EEEv13SSMParamsBase.num_vgpr, 43
	.set _Z26selective_scan_vllm_kernelI18SSMFwdKernelTraitsILi128ELi4ELi8ELb0ELb0ELb1EEEv13SSMParamsBase.num_agpr, 0
	.set _Z26selective_scan_vllm_kernelI18SSMFwdKernelTraitsILi128ELi4ELi8ELb0ELb0ELb1EEEv13SSMParamsBase.numbered_sgpr, 50
	.set _Z26selective_scan_vllm_kernelI18SSMFwdKernelTraitsILi128ELi4ELi8ELb0ELb0ELb1EEEv13SSMParamsBase.num_named_barrier, 0
	.set _Z26selective_scan_vllm_kernelI18SSMFwdKernelTraitsILi128ELi4ELi8ELb0ELb0ELb1EEEv13SSMParamsBase.private_seg_size, 48
	.set _Z26selective_scan_vllm_kernelI18SSMFwdKernelTraitsILi128ELi4ELi8ELb0ELb0ELb1EEEv13SSMParamsBase.uses_vcc, 1
	.set _Z26selective_scan_vllm_kernelI18SSMFwdKernelTraitsILi128ELi4ELi8ELb0ELb0ELb1EEEv13SSMParamsBase.uses_flat_scratch, 1
	.set _Z26selective_scan_vllm_kernelI18SSMFwdKernelTraitsILi128ELi4ELi8ELb0ELb0ELb1EEEv13SSMParamsBase.has_dyn_sized_stack, 0
	.set _Z26selective_scan_vllm_kernelI18SSMFwdKernelTraitsILi128ELi4ELi8ELb0ELb0ELb1EEEv13SSMParamsBase.has_recursion, 0
	.set _Z26selective_scan_vllm_kernelI18SSMFwdKernelTraitsILi128ELi4ELi8ELb0ELb0ELb1EEEv13SSMParamsBase.has_indirect_call, 0
	.section	.AMDGPU.csdata,"",@progbits
; Kernel info:
; codeLenInByte = 2512
; TotalNumSgprs: 52
; NumVgprs: 43
; ScratchSize: 48
; MemoryBound: 0
; FloatMode: 240
; IeeeMode: 1
; LDSByteSize: 0 bytes/workgroup (compile time only)
; SGPRBlocks: 0
; VGPRBlocks: 2
; NumSGPRsForWavesPerEU: 52
; NumVGPRsForWavesPerEU: 43
; NamedBarCnt: 0
; Occupancy: 16
; WaveLimiterHint : 0
; COMPUTE_PGM_RSRC2:SCRATCH_EN: 1
; COMPUTE_PGM_RSRC2:USER_SGPR: 2
; COMPUTE_PGM_RSRC2:TRAP_HANDLER: 0
; COMPUTE_PGM_RSRC2:TGID_X_EN: 1
; COMPUTE_PGM_RSRC2:TGID_Y_EN: 1
; COMPUTE_PGM_RSRC2:TGID_Z_EN: 0
; COMPUTE_PGM_RSRC2:TIDIG_COMP_CNT: 0
	.section	.text._Z26selective_scan_vllm_kernelI18SSMFwdKernelTraitsILi128ELi4ELi8ELb0ELb0ELb0EEEv13SSMParamsBase,"axG",@progbits,_Z26selective_scan_vllm_kernelI18SSMFwdKernelTraitsILi128ELi4ELi8ELb0ELb0ELb0EEEv13SSMParamsBase,comdat
	.protected	_Z26selective_scan_vllm_kernelI18SSMFwdKernelTraitsILi128ELi4ELi8ELb0ELb0ELb0EEEv13SSMParamsBase ; -- Begin function _Z26selective_scan_vllm_kernelI18SSMFwdKernelTraitsILi128ELi4ELi8ELb0ELb0ELb0EEEv13SSMParamsBase
	.globl	_Z26selective_scan_vllm_kernelI18SSMFwdKernelTraitsILi128ELi4ELi8ELb0ELb0ELb0EEEv13SSMParamsBase
	.p2align	8
	.type	_Z26selective_scan_vllm_kernelI18SSMFwdKernelTraitsILi128ELi4ELi8ELb0ELb0ELb0EEEv13SSMParamsBase,@function
_Z26selective_scan_vllm_kernelI18SSMFwdKernelTraitsILi128ELi4ELi8ELb0ELb0ELb0EEEv13SSMParamsBase: ; @_Z26selective_scan_vllm_kernelI18SSMFwdKernelTraitsILi128ELi4ELi8ELb0ELb0ELb0EEEv13SSMParamsBase
; %bb.0:
	s_load_b64 s[8:9], s[0:1], 0x4
	s_bfe_u32 s3, ttmp6, 0x4000c
	s_bfe_u32 s4, ttmp6, 0x40010
	s_add_co_i32 s3, s3, 1
	s_add_co_i32 s4, s4, 1
	s_and_b32 s2, ttmp6, 15
	s_bfe_u32 s5, ttmp6, 0x40004
	s_mul_i32 s3, ttmp9, s3
	s_mul_i32 s4, ttmp7, s4
	s_getreg_b32 s6, hwreg(HW_REG_IB_STS2, 6, 4)
	s_add_co_i32 s2, s2, s3
	s_add_co_i32 s5, s5, s4
	s_cmp_eq_u32 s6, 0
	s_clause 0x2
	s_load_b256 s[16:23], s[0:1], 0x18
	s_load_b128 s[36:39], s[0:1], 0x38
	s_load_b64 s[6:7], s[0:1], 0x48
	s_cselect_b32 s50, ttmp9, s2
	s_cselect_b32 s34, ttmp7, s5
	s_clause 0x1
	s_load_b64 s[46:47], s[0:1], 0x88
	s_load_b128 s[40:43], s[0:1], 0x78
	s_mov_b32 s11, 0
	v_cmp_eq_u32_e64 s3, 0, v0
	s_mov_b32 s5, s11
	s_wait_kmcnt 0x0
	s_abs_i32 s12, s8
	s_ashr_i32 s13, s50, 31
	s_cvt_f32_u32 s2, s12
	s_sub_co_i32 s10, 0, s12
	s_delay_alu instid0(SALU_CYCLE_2) | instskip(SKIP_1) | instid1(TRANS32_DEP_1)
	v_rcp_iflag_f32_e32 v1, s2
	v_nop
	v_readfirstlane_b32 s2, v1
	s_mul_f32 s2, s2, 0x4f7ffffe
	s_delay_alu instid0(SALU_CYCLE_3) | instskip(SKIP_1) | instid1(SALU_CYCLE_2)
	s_cvt_u32_f32 s4, s2
	v_cmp_ne_u32_e64 s2, 0, v0
	s_mul_i32 s10, s10, s4
	s_delay_alu instid0(SALU_CYCLE_1)
	s_mul_hi_u32 s14, s4, s10
	s_abs_i32 s10, s50
	s_add_co_i32 s4, s4, s14
	s_ashr_i32 s14, s8, 31
	s_mul_u64 s[4:5], s[10:11], s[4:5]
	s_lshl_b32 s4, s34, 9
	s_and_saveexec_b32 s11, s3
	s_cbranch_execz .LBB8_2
; %bb.1:
	s_add_co_i32 s15, s4, 0x200
	s_not_b32 s24, s4
	s_min_i32 s15, s15, s9
	v_mov_b32_e32 v1, 0
	s_add_co_i32 s15, s15, s24
	s_delay_alu instid0(SALU_CYCLE_1) | instskip(NEXT) | instid1(SALU_CYCLE_1)
	s_ashr_i32 s24, s15, 31
	s_lshr_b32 s24, s24, 30
	s_delay_alu instid0(SALU_CYCLE_1) | instskip(NEXT) | instid1(SALU_CYCLE_1)
	s_add_co_i32 s24, s15, s24
	s_and_b32 s25, s24, -4
	s_ashr_i32 s24, s24, 2
	s_sub_co_i32 s15, s15, s25
	s_delay_alu instid0(SALU_CYCLE_1)
	v_dual_mov_b32 v2, s24 :: v_dual_mov_b32 v3, s15
	ds_store_b64 v1, v[2:3] offset:36960
.LBB8_2:
	s_or_b32 exec_lo, exec_lo, s11
	s_mul_i32 s11, s5, s12
	s_xor_b32 s13, s13, s14
	s_sub_co_i32 s10, s10, s11
	s_add_co_i32 s11, s5, 1
	s_sub_co_i32 s14, s10, s12
	s_cmp_ge_u32 s10, s12
	v_dual_mov_b32 v4, 0 :: v_dual_lshlrev_b32 v1, 2, v0
	s_cselect_b32 s5, s11, s5
	s_cselect_b32 s10, s14, s10
	s_add_co_i32 s11, s5, 1
	s_wait_dscnt 0x0
	s_cmp_ge_u32 s10, s12
	s_barrier_signal -1
	s_barrier_wait -1
	ds_load_b64 v[2:3], v4 offset:36960
	s_cselect_b32 s5, s11, s5
	v_dual_mov_b32 v5, 0 :: v_dual_add_nc_u32 v10, s4, v1
	s_xor_b32 s5, s5, s13
	s_delay_alu instid0(SALU_CYCLE_1) | instskip(NEXT) | instid1(VALU_DEP_1)
	s_sub_co_i32 s33, s5, s13
	v_cmp_gt_i32_e64 s4, s9, v10
	s_mul_i32 s5, s33, s8
	s_mul_i32 s10, s33, s40
	s_sub_co_i32 s48, s50, s5
	s_ashr_i32 s11, s10, 31
	s_ashr_i32 s49, s48, 31
	s_lshl_b64 s[44:45], s[10:11], 2
	s_mul_i32 s10, s48, s41
	v_cmp_le_i32_e64 s5, s9, v10
	s_ashr_i32 s11, s10, 31
	s_add_nc_u64 s[12:13], s[16:17], s[44:45]
	s_lshl_b64 s[40:41], s[10:11], 2
	s_lshl_b64 s[10:11], s[48:49], 2
	s_add_nc_u64 s[14:15], s[12:13], s[40:41]
	s_add_nc_u64 s[6:7], s[6:7], s[10:11]
	s_and_saveexec_b32 s8, s4
	s_cbranch_execz .LBB8_4
; %bb.3:
	global_load_b32 v5, v10, s[14:15] scale_offset
.LBB8_4:
	s_wait_xcnt 0x0
	s_or_b32 exec_lo, exec_lo, s8
	s_load_b32 s16, s[6:7], 0x0
	s_wait_xcnt 0x0
	s_add_nc_u64 s[6:7], s[18:19], s[44:45]
	s_delay_alu instid0(SALU_CYCLE_1)
	s_add_nc_u64 s[12:13], s[6:7], s[40:41]
	s_and_saveexec_b32 s6, s4
	s_cbranch_execz .LBB8_6
; %bb.5:
	global_load_b32 v4, v10, s[12:13] scale_offset
.LBB8_6:
	s_wait_xcnt 0x0
	s_or_b32 exec_lo, exec_lo, s6
	v_lshl_add_u32 v1, v1, 2, 0
	s_wait_loadcnt 0x0
	s_wait_kmcnt 0x0
	v_dual_add_f32 v7, s16, v4 :: v_dual_bitop2_b32 v6, 1, v10 bitop3:0x54
	s_delay_alu instid0(VALU_DEP_2) | instskip(NEXT) | instid1(VALU_DEP_2)
	v_dual_mov_b32 v4, 0 :: v_dual_add_nc_u32 v8, 32, v1
	v_cmp_gt_i32_e64 s6, s9, v6
	v_mov_b32_e32 v6, 0
	ds_store_2addr_stride64_b32 v8, v5, v7 offset1:8
	s_and_saveexec_b32 s7, s6
	s_cbranch_execz .LBB8_8
; %bb.7:
	global_load_b32 v4, v10, s[14:15] offset:4 scale_offset
.LBB8_8:
	s_wait_xcnt 0x0
	s_or_b32 exec_lo, exec_lo, s7
	s_and_saveexec_b32 s7, s6
	s_cbranch_execz .LBB8_10
; %bb.9:
	global_load_b32 v6, v10, s[12:13] offset:4 scale_offset
.LBB8_10:
	s_wait_xcnt 0x0
	s_or_b32 exec_lo, exec_lo, s7
	v_dual_add_nc_u32 v8, 36, v1 :: v_dual_bitop2_b32 v5, 2, v10 bitop3:0x54
	s_wait_loadcnt 0x0
	v_dual_add_f32 v7, s16, v6 :: v_dual_mov_b32 v6, 0
	s_delay_alu instid0(VALU_DEP_2)
	v_cmp_gt_i32_e64 s7, s9, v5
	v_mov_b32_e32 v5, 0
	ds_store_2addr_stride64_b32 v8, v4, v7 offset1:8
	s_and_saveexec_b32 s8, s7
	s_cbranch_execz .LBB8_12
; %bb.11:
	global_load_b32 v5, v10, s[14:15] offset:8 scale_offset
.LBB8_12:
	s_wait_xcnt 0x0
	s_or_b32 exec_lo, exec_lo, s8
	s_and_saveexec_b32 s8, s7
	s_cbranch_execz .LBB8_14
; %bb.13:
	global_load_b32 v6, v10, s[12:13] offset:8 scale_offset
.LBB8_14:
	s_wait_xcnt 0x0
	s_or_b32 exec_lo, exec_lo, s8
	v_dual_add_nc_u32 v7, 40, v1 :: v_dual_bitop2_b32 v4, 3, v10 bitop3:0x54
	s_wait_loadcnt 0x0
	v_add_f32_e32 v6, s16, v6
	s_delay_alu instid0(VALU_DEP_2)
	v_cmp_le_i32_e32 vcc_lo, s9, v4
	v_cmp_gt_i32_e64 s8, s9, v4
	v_mov_b32_e32 v4, 0
	ds_store_2addr_stride64_b32 v7, v5, v6 offset1:8
	s_and_saveexec_b32 s9, s8
	s_cbranch_execz .LBB8_16
; %bb.15:
	global_load_b32 v4, v10, s[14:15] offset:12 scale_offset
.LBB8_16:
	s_wait_xcnt 0x0
	s_or_b32 exec_lo, exec_lo, s9
	v_ashrrev_i32_e32 v11, 31, v10
	s_and_saveexec_b32 s9, vcc_lo
	s_delay_alu instid0(SALU_CYCLE_1) | instskip(NEXT) | instid1(SALU_CYCLE_1)
	s_xor_b32 s9, exec_lo, s9
	s_or_saveexec_b32 s9, s9
	s_clause 0x1
	s_load_b32 s19, s[0:1], 0x10
	s_load_b256 s[24:31], s[0:1], 0x58
	v_dual_mov_b32 v34, 0 :: v_dual_mov_b32 v5, 0
	s_xor_b32 exec_lo, exec_lo, s9
	s_cbranch_execz .LBB8_18
; %bb.17:
	global_load_b32 v5, v10, s[12:13] offset:12 scale_offset
.LBB8_18:
	s_wait_xcnt 0x0
	s_or_b32 exec_lo, exec_lo, s9
	v_dual_add_nc_u32 v6, 44, v1 :: v_dual_bitop2_b32 v16, 31, v0 bitop3:0x54
	v_mbcnt_lo_u32_b32 v8, -1, 0
	s_wait_loadcnt 0x0
	v_add_f32_e32 v5, s16, v5
	s_add_nc_u64 s[0:1], s[38:39], s[10:11]
	s_lshl_b32 s54, s48, 3
	s_cmp_lg_u32 s34, 0
	v_and_b32_e32 v9, 15, v8
	ds_store_2addr_stride64_b32 v6, v4, v5 offset1:8
	s_wait_dscnt 0x0
	s_barrier_signal -1
	s_barrier_wait -1
	s_load_b32 s12, s[0:1], 0x0
	ds_load_2addr_b32 v[4:5], v1 offset0:10 offset1:11
	ds_load_2addr_b32 v[6:7], v1 offset0:8 offset1:9
	s_wait_xcnt 0x0
	v_sub_co_u32 v18, s0, v8, 1
	s_mul_i32 s38, s33, s42
	s_mul_i32 s33, s33, s46
	;; [unrolled: 1-line block ×3, first 2 shown]
	v_cmp_gt_i32_e32 vcc_lo, 0, v18
	v_and_b32_e32 v17, 16, v8
	s_cselect_b32 s52, -1, 0
	s_ashr_i32 s55, s54, 31
	v_cmp_eq_u32_e64 s1, 0, v9
	v_lshlrev_b32_e32 v3, 3, v3
	v_cmp_lt_u32_e64 s9, 1, v9
	v_cmp_lt_u32_e64 s10, 3, v9
	;; [unrolled: 1-line block ×3, first 2 shown]
	v_cmp_gt_u32_e64 s14, 4, v0
	v_mov_b32_e32 v38, v3
	v_cmp_lt_u32_e64 s15, 31, v0
	s_add_co_i32 s33, s16, s33
	s_wait_dscnt 0x1
	s_wait_kmcnt 0x0
	v_pk_mul_f32 v[12:13], s[12:13], v[4:5] op_sel_hi:[0,1]
	v_cndmask_b32_e32 v4, v18, v8, vcc_lo
	v_lshrrev_b32_e32 v5, 2, v0
	s_wait_dscnt 0x0
	v_pk_mul_f32 v[14:15], s[12:13], v[6:7] op_sel_hi:[0,1]
	v_cmp_eq_u32_e64 s12, 0, v17
	v_cmp_eq_u32_e64 s13, v0, v16
	v_dual_lshlrev_b32 v35, 2, v4 :: v_dual_bitop2_b32 v4, 24, v5 bitop3:0x40
	v_lshlrev_b32_e32 v5, 3, v0
	v_and_b32_e32 v6, 3, v8
	v_cmp_eq_u32_e64 s18, v0, v2
	v_lshl_add_u32 v39, v0, 4, 0x1020
	s_delay_alu instid0(VALU_DEP_4) | instskip(NEXT) | instid1(VALU_DEP_4)
	v_dual_add_nc_u32 v36, 0, v4 :: v_dual_sub_nc_u32 v4, 0, v5
	v_cmp_eq_u32_e64 s16, 0, v6
	v_cmp_lt_u32_e64 s17, 1, v6
	v_add_nc_u32_e32 v40, 0x820, v1
	v_add_nc_u32_e32 v41, 0x828, v1
	;; [unrolled: 1-line block ×3, first 2 shown]
	v_add_nc_u32_e32 v37, -8, v36
	s_mul_i32 s50, s50, s19
	s_lshl_b64 s[48:49], s[54:55], 2
	s_mov_b32 s42, 0
	s_ashr_i32 s35, s34, 31
	s_lshl_b32 s46, s50, 3
	s_add_nc_u64 s[20:21], s[20:21], s[48:49]
	s_mov_b32 s48, s33
	s_branch .LBB8_20
.LBB8_19:                               ;   in Loop: Header=BB8_20 Depth=1
	s_wait_xcnt 0x0
	s_or_b32 exec_lo, exec_lo, s47
	v_dual_mov_b32 v16, v17 :: v_dual_mov_b32 v22, v2
	v_dual_mov_b32 v23, v4 :: v_dual_mov_b32 v4, v3
	;; [unrolled: 1-line block ×3, first 2 shown]
	v_dual_mov_b32 v8, v7 :: v_dual_add_nc_u32 v39, 0x800, v39
	s_delay_alu instid0(VALU_DEP_3) | instskip(SKIP_2) | instid1(VALU_DEP_2)
	v_pk_fma_f32 v[4:5], v[16:17], v[22:23], v[4:5] op_sel_hi:[0,1,1]
	s_add_co_i32 s42, s42, 4
	s_add_co_i32 s38, s38, s43
	v_pk_fma_f32 v[2:3], v[16:17], v[2:3], v[8:9] op_sel_hi:[0,1,1]
	s_add_co_i32 s48, s48, 1
	s_wait_dscnt 0x1
	v_pk_fma_f32 v[14:15], v[20:21], v[4:5], v[14:15]
	s_add_co_i32 s46, s46, s19
	s_cmp_eq_u32 s42, 32
	s_wait_dscnt 0x0
	v_pk_fma_f32 v[12:13], v[18:19], v[2:3], v[12:13]
	s_add_nc_u64 s[20:21], s[20:21], 4
	s_wait_storecnt 0x0
	s_barrier_signal -1
	s_barrier_wait -1
	s_cbranch_scc1 .LBB8_54
.LBB8_20:                               ; =>This Inner Loop Header: Depth=1
	s_and_saveexec_b32 s39, s3
	s_cbranch_execz .LBB8_25
; %bb.21:                               ;   in Loop: Header=BB8_20 Depth=1
	s_and_b32 vcc_lo, exec_lo, s52
	s_cbranch_vccz .LBB8_53
; %bb.22:                               ;   in Loop: Header=BB8_20 Depth=1
	s_ashr_i32 s47, s46, 31
	s_delay_alu instid0(SALU_CYCLE_1) | instskip(NEXT) | instid1(SALU_CYCLE_1)
	s_add_nc_u64 s[50:51], s[34:35], s[46:47]
	s_lshl_b64 s[50:51], s[50:51], 2
	s_delay_alu instid0(SALU_CYCLE_1)
	s_add_nc_u64 s[54:55], s[28:29], s[50:51]
	s_add_nc_u64 s[50:51], s[30:31], s[50:51]
	global_load_b32 v2, v34, s[54:55] offset:-4
	s_add_nc_u64 s[50:51], s[50:51], -4
	s_cbranch_execnz .LBB8_24
.LBB8_23:                               ;   in Loop: Header=BB8_20 Depth=1
	s_ashr_i32 s49, s48, 31
	s_wait_loadcnt 0x0
	v_mov_b32_e32 v2, 1.0
	s_lshl_b64 s[50:51], s[48:49], 2
	s_delay_alu instid0(SALU_CYCLE_1)
	s_add_nc_u64 s[50:51], s[24:25], s[50:51]
.LBB8_24:                               ;   in Loop: Header=BB8_20 Depth=1
	global_load_b32 v3, v34, s[50:51]
	s_add_co_i32 s47, s42, 0
	s_delay_alu instid0(SALU_CYCLE_1)
	v_add_nc_u32_e64 v4, 0x9000, s47
	s_wait_loadcnt 0x0
	ds_store_2addr_b32 v4, v2, v3 offset0:8 offset1:16
.LBB8_25:                               ;   in Loop: Header=BB8_20 Depth=1
	s_or_b32 exec_lo, exec_lo, s39
	v_add_nc_u32_e32 v43, 0, v39
	s_and_saveexec_b32 s39, s5
	s_delay_alu instid0(SALU_CYCLE_1)
	s_xor_b32 s39, exec_lo, s39
; %bb.26:                               ;   in Loop: Header=BB8_20 Depth=1
	ds_store_b32 v43, v34
; %bb.27:                               ;   in Loop: Header=BB8_20 Depth=1
	s_or_saveexec_b32 s39, s39
	v_dual_mov_b32 v3, 0 :: v_dual_mov_b32 v2, 0
	s_xor_b32 exec_lo, exec_lo, s39
	s_cbranch_execz .LBB8_29
; %bb.28:                               ;   in Loop: Header=BB8_20 Depth=1
	v_add_nc_u32_e32 v4, s38, v10
	s_clause 0x1
	global_load_b32 v5, v4, s[22:23] scale_offset
	global_load_b32 v2, v4, s[36:37] scale_offset
	s_wait_loadcnt 0x1
	ds_store_b32 v43, v5
.LBB8_29:                               ;   in Loop: Header=BB8_20 Depth=1
	s_wait_xcnt 0x0
	s_or_b32 exec_lo, exec_lo, s39
	s_wait_loadcnt 0x0
	ds_store_b32 v43, v2 offset:16384
	s_and_saveexec_b32 s47, s6
	s_cbranch_execz .LBB8_31
; %bb.30:                               ;   in Loop: Header=BB8_20 Depth=1
	s_ashr_i32 s39, s38, 31
	s_delay_alu instid0(SALU_CYCLE_1) | instskip(NEXT) | instid1(VALU_DEP_1)
	v_add_nc_u64_e32 v[2:3], s[38:39], v[10:11]
	v_lshl_add_u64 v[2:3], v[2:3], 2, s[22:23]
	global_load_b32 v3, v[2:3], off offset:4
.LBB8_31:                               ;   in Loop: Header=BB8_20 Depth=1
	s_wait_xcnt 0x0
	s_or_b32 exec_lo, exec_lo, s47
	v_dual_mov_b32 v2, 0 :: v_dual_mov_b32 v4, 0
	s_wait_loadcnt 0x0
	ds_store_b32 v43, v3 offset:4
	s_and_saveexec_b32 s47, s6
	s_cbranch_execz .LBB8_33
; %bb.32:                               ;   in Loop: Header=BB8_20 Depth=1
	s_ashr_i32 s39, s38, 31
	s_delay_alu instid0(SALU_CYCLE_1) | instskip(NEXT) | instid1(VALU_DEP_1)
	v_add_nc_u64_e32 v[4:5], s[38:39], v[10:11]
	v_lshl_add_u64 v[4:5], v[4:5], 2, s[36:37]
	global_load_b32 v4, v[4:5], off offset:4
.LBB8_33:                               ;   in Loop: Header=BB8_20 Depth=1
	s_wait_xcnt 0x0
	s_or_b32 exec_lo, exec_lo, s47
	s_wait_loadcnt 0x0
	ds_store_b32 v43, v4 offset:16388
	s_and_saveexec_b32 s47, s7
	s_cbranch_execz .LBB8_35
; %bb.34:                               ;   in Loop: Header=BB8_20 Depth=1
	s_ashr_i32 s39, s38, 31
	s_delay_alu instid0(SALU_CYCLE_1) | instskip(NEXT) | instid1(VALU_DEP_1)
	v_add_nc_u64_e32 v[2:3], s[38:39], v[10:11]
	v_lshl_add_u64 v[2:3], v[2:3], 2, s[22:23]
	global_load_b32 v2, v[2:3], off offset:8
.LBB8_35:                               ;   in Loop: Header=BB8_20 Depth=1
	s_wait_xcnt 0x0
	s_or_b32 exec_lo, exec_lo, s47
	v_dual_mov_b32 v3, 0 :: v_dual_mov_b32 v4, 0
	s_wait_loadcnt 0x0
	ds_store_b32 v43, v2 offset:8
	s_and_saveexec_b32 s47, s7
	s_cbranch_execz .LBB8_37
; %bb.36:                               ;   in Loop: Header=BB8_20 Depth=1
	s_ashr_i32 s39, s38, 31
	s_delay_alu instid0(SALU_CYCLE_1) | instskip(NEXT) | instid1(VALU_DEP_1)
	v_add_nc_u64_e32 v[4:5], s[38:39], v[10:11]
	v_lshl_add_u64 v[4:5], v[4:5], 2, s[36:37]
	global_load_b32 v4, v[4:5], off offset:8
.LBB8_37:                               ;   in Loop: Header=BB8_20 Depth=1
	s_wait_xcnt 0x0
	s_or_b32 exec_lo, exec_lo, s47
	s_wait_loadcnt 0x0
	ds_store_b32 v43, v4 offset:16392
	s_and_saveexec_b32 s47, s8
	s_cbranch_execz .LBB8_39
; %bb.38:                               ;   in Loop: Header=BB8_20 Depth=1
	s_ashr_i32 s39, s38, 31
	s_delay_alu instid0(SALU_CYCLE_1) | instskip(NEXT) | instid1(VALU_DEP_1)
	v_add_nc_u64_e32 v[2:3], s[38:39], v[10:11]
	v_lshl_add_u64 v[2:3], v[2:3], 2, s[22:23]
	global_load_b32 v3, v[2:3], off offset:12
.LBB8_39:                               ;   in Loop: Header=BB8_20 Depth=1
	s_wait_xcnt 0x0
	s_or_b32 exec_lo, exec_lo, s47
	v_mov_b32_e32 v2, 0
	s_wait_loadcnt 0x0
	ds_store_b32 v43, v3 offset:12
	s_and_saveexec_b32 s47, s8
	s_cbranch_execz .LBB8_41
; %bb.40:                               ;   in Loop: Header=BB8_20 Depth=1
	s_ashr_i32 s39, s38, 31
	s_delay_alu instid0(SALU_CYCLE_1) | instskip(NEXT) | instid1(VALU_DEP_1)
	v_add_nc_u64_e32 v[2:3], s[38:39], v[10:11]
	v_lshl_add_u64 v[2:3], v[2:3], 2, s[36:37]
	global_load_b32 v2, v[2:3], off offset:12
.LBB8_41:                               ;   in Loop: Header=BB8_20 Depth=1
	s_wait_xcnt 0x0
	s_or_b32 exec_lo, exec_lo, s47
	s_wait_loadcnt 0x0
	ds_store_b32 v43, v2 offset:16396
	s_wait_dscnt 0x0
	s_barrier_signal -1
	s_barrier_wait -1
	global_load_b32 v22, v34, s[20:21]
	ds_load_2addr_b32 v[2:3], v40 offset1:1
	ds_load_2addr_b32 v[4:5], v43 offset1:1
	ds_load_2addr_b32 v[6:7], v1 offset0:8 offset1:9
	ds_load_2addr_b32 v[8:9], v43 offset0:2 offset1:3
	ds_load_2addr_b32 v[16:17], v41 offset1:1
	ds_load_2addr_b32 v[24:25], v1 offset0:10 offset1:11
	s_add_co_i32 s39, s42, 0
	s_wait_loadcnt_dscnt 0x1
	v_dual_mul_f32 v27, v16, v8 :: v_dual_mul_f32 v18, v3, v22
	v_dual_mul_f32 v19, v2, v22 :: v_dual_mul_f32 v2, v2, v4
	;; [unrolled: 1-line block ×3, first 2 shown]
	s_delay_alu instid0(VALU_DEP_3) | instskip(SKIP_1) | instid1(VALU_DEP_4)
	v_mul_f32_e32 v18, 0x3fb8aa3b, v18
	v_add_nc_u32_e64 v16, 0x9000, s39
	v_mul_f32_e32 v44, v6, v2
	v_mul_f32_e32 v6, v17, v22
	s_delay_alu instid0(VALU_DEP_4) | instskip(SKIP_1) | instid1(TRANS32_DEP_1)
	v_exp_f32_e32 v18, v18
	v_mul_f32_e32 v4, 0x3fb8aa3b, v19
	v_dual_mul_f32 v19, v7, v3 :: v_dual_mul_f32 v3, v44, v18
	s_delay_alu instid0(VALU_DEP_2) | instskip(SKIP_2) | instid1(VALU_DEP_1)
	v_exp_f32_e32 v2, v4
	v_nop
	v_mul_f32_e32 v4, 0x3fb8aa3b, v5
	v_exp_f32_e32 v26, v4
	s_delay_alu instid0(TRANS32_DEP_2) | instskip(SKIP_1) | instid1(VALU_DEP_1)
	v_pk_add_f32 v[20:21], v[2:3], v[18:19]
	s_wait_dscnt 0x0
	v_dual_mov_b32 v5, v24 :: v_dual_mov_b32 v4, v21
	s_delay_alu instid0(TRANS32_DEP_1) | instid1(VALU_DEP_1)
	v_pk_mul_f32 v[28:29], v[4:5], v[26:27]
	s_delay_alu instid0(VALU_DEP_1) | instskip(NEXT) | instid1(VALU_DEP_1)
	v_dual_mul_f32 v7, 0x3fb8aa3b, v6 :: v_dual_mov_b32 v6, v29
	v_exp_f32_e32 v24, v7
	s_delay_alu instid0(VALU_DEP_1) | instskip(SKIP_2) | instid1(TRANS32_DEP_1)
	v_pk_fma_f32 v[22:23], v[4:5], v[26:27], v[6:7]
	v_mul_f32_e32 v6, v17, v9
	v_pk_mul_f32 v[4:5], v[2:3], v[18:19]
	v_mov_b32_e32 v27, v24
	ds_load_2addr_b32 v[16:17], v16 offset0:8 offset1:16
	v_dual_mov_b32 v5, v22 :: v_dual_mul_f32 v25, v25, v6
	s_delay_alu instid0(VALU_DEP_1) | instskip(NEXT) | instid1(VALU_DEP_2)
	v_pk_mul_f32 v[6:7], v[4:5], v[26:27]
	v_pk_fma_f32 v[30:31], v[4:5], v[26:27], v[24:25]
	s_delay_alu instid0(VALU_DEP_2) | instskip(NEXT) | instid1(VALU_DEP_2)
	v_pk_mul_f32 v[8:9], v[6:7], v[24:25]
	v_mov_b32_dpp v3, v31 row_shr:1 row_mask:0xf bank_mask:0xf
	s_delay_alu instid0(VALU_DEP_2) | instskip(NEXT) | instid1(VALU_DEP_1)
	v_mov_b32_dpp v5, v8 row_shr:1 row_mask:0xf bank_mask:0xf
	v_dual_fma_f32 v3, v8, v3, v31 :: v_dual_mul_f32 v5, v8, v5
	s_delay_alu instid0(VALU_DEP_1) | instskip(NEXT) | instid1(VALU_DEP_1)
	v_dual_cndmask_b32 v3, v3, v31, s1 :: v_dual_cndmask_b32 v5, v5, v8, s1
	v_mov_b32_dpp v7, v3 row_shr:2 row_mask:0xf bank_mask:0xf
	s_delay_alu instid0(VALU_DEP_1) | instskip(NEXT) | instid1(VALU_DEP_1)
	v_fma_f32 v7, v5, v7, v3
	v_cndmask_b32_e64 v3, v3, v7, s9
	v_mov_b32_dpp v9, v5 row_shr:2 row_mask:0xf bank_mask:0xf
	s_delay_alu instid0(VALU_DEP_1) | instskip(NEXT) | instid1(VALU_DEP_3)
	v_mul_f32_e32 v9, v5, v9
	v_mov_b32_dpp v7, v3 row_shr:4 row_mask:0xf bank_mask:0xf
	s_delay_alu instid0(VALU_DEP_2) | instskip(NEXT) | instid1(VALU_DEP_1)
	v_cndmask_b32_e64 v5, v5, v9, s9
	v_fma_f32 v7, v5, v7, v3
	s_delay_alu instid0(VALU_DEP_1) | instskip(SKIP_1) | instid1(VALU_DEP_1)
	v_cndmask_b32_e64 v3, v3, v7, s10
	v_mov_b32_dpp v9, v5 row_shr:4 row_mask:0xf bank_mask:0xf
	v_mul_f32_e32 v9, v5, v9
	s_delay_alu instid0(VALU_DEP_3) | instskip(NEXT) | instid1(VALU_DEP_2)
	v_mov_b32_dpp v7, v3 row_shr:8 row_mask:0xf bank_mask:0xf
	v_cndmask_b32_e64 v5, v5, v9, s10
	s_delay_alu instid0(VALU_DEP_1) | instskip(NEXT) | instid1(VALU_DEP_1)
	v_fma_f32 v7, v5, v7, v3
	v_cndmask_b32_e64 v7, v3, v7, s11
	v_mov_b32_dpp v9, v5 row_shr:8 row_mask:0xf bank_mask:0xf
	ds_swizzle_b32 v3, v7 offset:swizzle(BROADCAST,32,15)
	v_mul_f32_e32 v9, v5, v9
	s_delay_alu instid0(VALU_DEP_1) | instskip(SKIP_1) | instid1(VALU_DEP_1)
	v_cndmask_b32_e64 v9, v5, v9, s11
	s_wait_dscnt 0x0
	v_fma_f32 v20, v9, v3, v7
	s_delay_alu instid0(VALU_DEP_1) | instskip(SKIP_3) | instid1(VALU_DEP_1)
	v_cndmask_b32_e64 v3, v20, v7, s12
	ds_swizzle_b32 v5, v9 offset:swizzle(BROADCAST,32,15)
	s_wait_dscnt 0x0
	v_mul_f32_e32 v23, v9, v5
	v_cndmask_b32_e64 v5, v23, v9, s12
	s_and_saveexec_b32 s47, s13
; %bb.42:                               ;   in Loop: Header=BB8_20 Depth=1
	v_dual_cndmask_b32 v7, v20, v7, s12 :: v_dual_cndmask_b32 v9, v23, v9, s12
	ds_store_2addr_b32 v36, v9, v7 offset1:1
; %bb.43:                               ;   in Loop: Header=BB8_20 Depth=1
	s_or_b32 exec_lo, exec_lo, s47
	s_wait_dscnt 0x0
	s_barrier_signal -1
	s_barrier_wait -1
	s_and_saveexec_b32 s47, s14
	s_cbranch_execz .LBB8_45
; %bb.44:                               ;   in Loop: Header=BB8_20 Depth=1
	ds_load_2addr_b32 v[32:33], v42 offset1:1
	s_wait_dscnt 0x0
	v_mov_b32_dpp v7, v32 row_shr:1 row_mask:0xf bank_mask:0xf
	v_mov_b32_dpp v9, v33 row_shr:1 row_mask:0xf bank_mask:0xf
	s_delay_alu instid0(VALU_DEP_1) | instskip(NEXT) | instid1(VALU_DEP_1)
	v_dual_mul_f32 v7, v32, v7 :: v_dual_fma_f32 v9, v32, v9, v33
	v_dual_cndmask_b32 v7, v7, v32, s16 :: v_dual_cndmask_b32 v9, v9, v33, s16
	s_delay_alu instid0(VALU_DEP_1) | instskip(NEXT) | instid1(VALU_DEP_2)
	v_mov_b32_dpp v20, v7 row_shr:2 row_mask:0xf bank_mask:0xf
	v_mov_b32_dpp v23, v9 row_shr:2 row_mask:0xf bank_mask:0xf
	s_delay_alu instid0(VALU_DEP_1) | instskip(NEXT) | instid1(VALU_DEP_1)
	v_dual_mul_f32 v20, v7, v20 :: v_dual_fma_f32 v23, v7, v23, v9
	v_dual_cndmask_b32 v7, v7, v20, s17 :: v_dual_cndmask_b32 v9, v9, v23, s17
	ds_store_2addr_b32 v42, v7, v9 offset1:1
.LBB8_45:                               ;   in Loop: Header=BB8_20 Depth=1
	s_or_b32 exec_lo, exec_lo, s47
	s_wait_dscnt 0x0
	s_barrier_signal -1
	s_barrier_wait -1
                                        ; implicit-def: $vgpr32
	s_and_saveexec_b32 s47, s15
	s_cbranch_execz .LBB8_47
; %bb.46:                               ;   in Loop: Header=BB8_20 Depth=1
	ds_load_2addr_b32 v[32:33], v37 offset1:1
	s_wait_dscnt 0x0
	v_dual_mul_f32 v7, v5, v32 :: v_dual_fmac_f32 v3, v5, v33
	s_delay_alu instid0(VALU_DEP_1)
	v_mov_b32_e32 v5, v7
.LBB8_47:                               ;   in Loop: Header=BB8_20 Depth=1
	s_or_b32 exec_lo, exec_lo, s47
	ds_bpermute_b32 v5, v35, v5
	ds_bpermute_b32 v7, v35, v3
	v_mov_b32_e32 v3, v44
	s_and_saveexec_b32 s47, s2
	s_delay_alu instid0(SALU_CYCLE_1)
	s_xor_b32 s47, exec_lo, s47
	s_cbranch_execz .LBB8_49
; %bb.48:                               ;   in Loop: Header=BB8_20 Depth=1
	s_wait_dscnt 0x0
	v_dual_cndmask_b32 v3, v7, v33, s0 :: v_dual_mov_b32 v6, v18
	v_mov_b32_e32 v7, v26
	;;#ASMSTART
	;;#ASMEND
                                        ; implicit-def: $vgpr30_vgpr31
                                        ; implicit-def: $vgpr20_vgpr21
                                        ; implicit-def: $vgpr22_vgpr23
	s_delay_alu instid0(VALU_DEP_2) | instskip(NEXT) | instid1(VALU_DEP_1)
	v_dual_fmac_f32 v44, v2, v3 :: v_dual_cndmask_b32 v3, v5, v32, s0
	v_dual_fmac_f32 v19, v44, v18 :: v_dual_mul_f32 v2, v2, v3
	s_delay_alu instid0(VALU_DEP_1) | instskip(NEXT) | instid1(VALU_DEP_1)
	v_dual_mov_b32 v3, v19 :: v_dual_mov_b32 v5, v19
	v_pk_fma_f32 v[6:7], v[2:3], v[6:7], v[28:29]
	s_delay_alu instid0(VALU_DEP_1) | instskip(NEXT) | instid1(VALU_DEP_1)
	v_dual_mul_f32 v4, v2, v18 :: v_dual_fmac_f32 v25, v7, v24
	v_mul_f32_e32 v6, v4, v26
	s_delay_alu instid0(VALU_DEP_2) | instskip(NEXT) | instid1(VALU_DEP_2)
	v_dual_mov_b32 v3, v44 :: v_dual_mov_b32 v9, v25
	v_mul_f32_e32 v8, v6, v24
.LBB8_49:                               ;   in Loop: Header=BB8_20 Depth=1
	s_and_not1_saveexec_b32 s47, s47
	s_cbranch_execz .LBB8_51
; %bb.50:                               ;   in Loop: Header=BB8_20 Depth=1
	s_wait_dscnt 0x1
	v_dual_mov_b32 v9, v31 :: v_dual_mov_b32 v5, v21
	s_wait_dscnt 0x0
	v_mov_b32_e32 v7, v22
.LBB8_51:                               ;   in Loop: Header=BB8_20 Depth=1
	s_or_b32 exec_lo, exec_lo, s47
	v_add_nc_u32_e32 v18, 0x4000, v43
	v_add_nc_u32_e32 v19, 0x4008, v43
	s_wait_dscnt 0x1
	scratch_store_b128 off, v[2:5], off
	s_wait_dscnt 0x0
	scratch_store_b128 off, v[6:9], off offset:16
	s_wait_storecnt 0x0
	s_barrier_signal -1
	s_barrier_wait -1
	ds_load_2addr_b32 v[20:21], v18 offset1:1
	ds_load_2addr_b32 v[18:19], v19 offset1:1
	s_wait_xcnt 0x0
	s_and_saveexec_b32 s47, s18
	s_cbranch_execz .LBB8_19
; %bb.52:                               ;   in Loop: Header=BB8_20 Depth=1
	scratch_load_b64 v[22:23], v38, off
	s_add_co_i32 s49, s34, s46
	s_wait_loadcnt 0x0
	v_dual_mov_b32 v24, s49 :: v_dual_mul_f32 v16, v16, v22
	v_fmac_f32_e32 v23, v17, v22
	v_add_nc_u32_e64 v22, 0x9000, s39
	s_clause 0x1
	global_store_b32 v24, v16, s[28:29] scale_offset
	global_store_b32 v24, v23, s[30:31] scale_offset
	ds_store_2addr_b32 v22, v16, v23 offset0:8 offset1:16
	s_branch .LBB8_19
.LBB8_53:                               ;   in Loop: Header=BB8_20 Depth=1
                                        ; implicit-def: $sgpr50_sgpr51
                                        ; implicit-def: $vgpr2
	s_branch .LBB8_23
.LBB8_54:
	s_add_nc_u64 s[0:1], s[26:27], s[44:45]
	s_delay_alu instid0(SALU_CYCLE_1) | instskip(NEXT) | instid1(SALU_CYCLE_1)
	s_add_nc_u64 s[0:1], s[0:1], s[40:41]
	v_lshl_add_u64 v[2:3], v[10:11], 2, s[0:1]
	s_and_saveexec_b32 s0, s4
	s_cbranch_execnz .LBB8_62
; %bb.55:
	s_or_b32 exec_lo, exec_lo, s0
	s_and_saveexec_b32 s0, s6
	s_cbranch_execnz .LBB8_63
.LBB8_56:
	s_or_b32 exec_lo, exec_lo, s0
	s_and_saveexec_b32 s0, s7
	s_cbranch_execnz .LBB8_64
.LBB8_57:
	s_or_b32 exec_lo, exec_lo, s0
	s_and_saveexec_b32 s0, s8
	s_cbranch_execz .LBB8_59
.LBB8_58:
	global_store_b32 v[2:3], v13, off offset:12
.LBB8_59:
	s_wait_xcnt 0x0
	s_or_b32 exec_lo, exec_lo, s0
	s_add_co_i32 s19, s19, -1
	v_cmp_gt_u32_e32 vcc_lo, 8, v0
	s_cmp_eq_u32 s34, s19
	s_cselect_b32 s0, -1, 0
	s_delay_alu instid0(SALU_CYCLE_1) | instskip(NEXT) | instid1(SALU_CYCLE_1)
	s_and_b32 s0, s0, vcc_lo
	s_and_saveexec_b32 s1, s0
	s_cbranch_execz .LBB8_61
; %bb.60:
	v_lshl_add_u32 v1, v0, 2, 0
	v_add_nc_u32_e32 v0, s33, v0
	ds_load_b32 v1, v1 offset:36928
	s_wait_dscnt 0x0
	global_store_b32 v0, v1, s[24:25] scale_offset
.LBB8_61:
	s_endpgm
.LBB8_62:
	global_store_b32 v[2:3], v14, off
	s_wait_xcnt 0x0
	s_or_b32 exec_lo, exec_lo, s0
	s_and_saveexec_b32 s0, s6
	s_cbranch_execz .LBB8_56
.LBB8_63:
	global_store_b32 v[2:3], v15, off offset:4
	s_wait_xcnt 0x0
	s_or_b32 exec_lo, exec_lo, s0
	s_and_saveexec_b32 s0, s7
	s_cbranch_execz .LBB8_57
.LBB8_64:
	global_store_b32 v[2:3], v12, off offset:8
	s_wait_xcnt 0x0
	s_or_b32 exec_lo, exec_lo, s0
	s_and_saveexec_b32 s0, s8
	s_cbranch_execnz .LBB8_58
	s_branch .LBB8_59
	.section	.rodata,"a",@progbits
	.p2align	6, 0x0
	.amdhsa_kernel _Z26selective_scan_vllm_kernelI18SSMFwdKernelTraitsILi128ELi4ELi8ELb0ELb0ELb0EEEv13SSMParamsBase
		.amdhsa_group_segment_fixed_size 0
		.amdhsa_private_segment_fixed_size 48
		.amdhsa_kernarg_size 144
		.amdhsa_user_sgpr_count 2
		.amdhsa_user_sgpr_dispatch_ptr 0
		.amdhsa_user_sgpr_queue_ptr 0
		.amdhsa_user_sgpr_kernarg_segment_ptr 1
		.amdhsa_user_sgpr_dispatch_id 0
		.amdhsa_user_sgpr_kernarg_preload_length 0
		.amdhsa_user_sgpr_kernarg_preload_offset 0
		.amdhsa_user_sgpr_private_segment_size 0
		.amdhsa_wavefront_size32 1
		.amdhsa_uses_dynamic_stack 0
		.amdhsa_enable_private_segment 1
		.amdhsa_system_sgpr_workgroup_id_x 1
		.amdhsa_system_sgpr_workgroup_id_y 1
		.amdhsa_system_sgpr_workgroup_id_z 0
		.amdhsa_system_sgpr_workgroup_info 0
		.amdhsa_system_vgpr_workitem_id 0
		.amdhsa_next_free_vgpr 45
		.amdhsa_next_free_sgpr 56
		.amdhsa_named_barrier_count 0
		.amdhsa_reserve_vcc 1
		.amdhsa_float_round_mode_32 0
		.amdhsa_float_round_mode_16_64 0
		.amdhsa_float_denorm_mode_32 3
		.amdhsa_float_denorm_mode_16_64 3
		.amdhsa_fp16_overflow 0
		.amdhsa_memory_ordered 1
		.amdhsa_forward_progress 1
		.amdhsa_inst_pref_size 28
		.amdhsa_round_robin_scheduling 0
		.amdhsa_exception_fp_ieee_invalid_op 0
		.amdhsa_exception_fp_denorm_src 0
		.amdhsa_exception_fp_ieee_div_zero 0
		.amdhsa_exception_fp_ieee_overflow 0
		.amdhsa_exception_fp_ieee_underflow 0
		.amdhsa_exception_fp_ieee_inexact 0
		.amdhsa_exception_int_div_zero 0
	.end_amdhsa_kernel
	.section	.text._Z26selective_scan_vllm_kernelI18SSMFwdKernelTraitsILi128ELi4ELi8ELb0ELb0ELb0EEEv13SSMParamsBase,"axG",@progbits,_Z26selective_scan_vllm_kernelI18SSMFwdKernelTraitsILi128ELi4ELi8ELb0ELb0ELb0EEEv13SSMParamsBase,comdat
.Lfunc_end8:
	.size	_Z26selective_scan_vllm_kernelI18SSMFwdKernelTraitsILi128ELi4ELi8ELb0ELb0ELb0EEEv13SSMParamsBase, .Lfunc_end8-_Z26selective_scan_vllm_kernelI18SSMFwdKernelTraitsILi128ELi4ELi8ELb0ELb0ELb0EEEv13SSMParamsBase
                                        ; -- End function
	.set _Z26selective_scan_vllm_kernelI18SSMFwdKernelTraitsILi128ELi4ELi8ELb0ELb0ELb0EEEv13SSMParamsBase.num_vgpr, 45
	.set _Z26selective_scan_vllm_kernelI18SSMFwdKernelTraitsILi128ELi4ELi8ELb0ELb0ELb0EEEv13SSMParamsBase.num_agpr, 0
	.set _Z26selective_scan_vllm_kernelI18SSMFwdKernelTraitsILi128ELi4ELi8ELb0ELb0ELb0EEEv13SSMParamsBase.numbered_sgpr, 56
	.set _Z26selective_scan_vllm_kernelI18SSMFwdKernelTraitsILi128ELi4ELi8ELb0ELb0ELb0EEEv13SSMParamsBase.num_named_barrier, 0
	.set _Z26selective_scan_vllm_kernelI18SSMFwdKernelTraitsILi128ELi4ELi8ELb0ELb0ELb0EEEv13SSMParamsBase.private_seg_size, 48
	.set _Z26selective_scan_vllm_kernelI18SSMFwdKernelTraitsILi128ELi4ELi8ELb0ELb0ELb0EEEv13SSMParamsBase.uses_vcc, 1
	.set _Z26selective_scan_vllm_kernelI18SSMFwdKernelTraitsILi128ELi4ELi8ELb0ELb0ELb0EEEv13SSMParamsBase.uses_flat_scratch, 0
	.set _Z26selective_scan_vllm_kernelI18SSMFwdKernelTraitsILi128ELi4ELi8ELb0ELb0ELb0EEEv13SSMParamsBase.has_dyn_sized_stack, 0
	.set _Z26selective_scan_vllm_kernelI18SSMFwdKernelTraitsILi128ELi4ELi8ELb0ELb0ELb0EEEv13SSMParamsBase.has_recursion, 0
	.set _Z26selective_scan_vllm_kernelI18SSMFwdKernelTraitsILi128ELi4ELi8ELb0ELb0ELb0EEEv13SSMParamsBase.has_indirect_call, 0
	.section	.AMDGPU.csdata,"",@progbits
; Kernel info:
; codeLenInByte = 3476
; TotalNumSgprs: 58
; NumVgprs: 45
; ScratchSize: 48
; MemoryBound: 0
; FloatMode: 240
; IeeeMode: 1
; LDSByteSize: 0 bytes/workgroup (compile time only)
; SGPRBlocks: 0
; VGPRBlocks: 2
; NumSGPRsForWavesPerEU: 58
; NumVGPRsForWavesPerEU: 45
; NamedBarCnt: 0
; Occupancy: 16
; WaveLimiterHint : 0
; COMPUTE_PGM_RSRC2:SCRATCH_EN: 1
; COMPUTE_PGM_RSRC2:USER_SGPR: 2
; COMPUTE_PGM_RSRC2:TRAP_HANDLER: 0
; COMPUTE_PGM_RSRC2:TGID_X_EN: 1
; COMPUTE_PGM_RSRC2:TGID_Y_EN: 1
; COMPUTE_PGM_RSRC2:TGID_Z_EN: 0
; COMPUTE_PGM_RSRC2:TIDIG_COMP_CNT: 0
	.text
	.p2alignl 7, 3214868480
	.fill 96, 4, 3214868480
	.section	.AMDGPU.gpr_maximums,"",@progbits
	.set amdgpu.max_num_vgpr, 0
	.set amdgpu.max_num_agpr, 0
	.set amdgpu.max_num_sgpr, 0
	.text
	.type	__hip_cuid_b22d8b257e018ed6,@object ; @__hip_cuid_b22d8b257e018ed6
	.section	.bss,"aw",@nobits
	.globl	__hip_cuid_b22d8b257e018ed6
__hip_cuid_b22d8b257e018ed6:
	.byte	0                               ; 0x0
	.size	__hip_cuid_b22d8b257e018ed6, 1

	.ident	"AMD clang version 22.0.0git (https://github.com/RadeonOpenCompute/llvm-project roc-7.2.4 26084 f58b06dce1f9c15707c5f808fd002e18c2accf7e)"
	.section	".note.GNU-stack","",@progbits
	.addrsig
	.addrsig_sym __hip_cuid_b22d8b257e018ed6
	.amdgpu_metadata
---
amdhsa.kernels:
  - .args:
      - .actual_access:  read_only
        .address_space:  global
        .offset:         0
        .size:           8
        .value_kind:     global_buffer
      - .actual_access:  read_only
        .address_space:  global
        .offset:         8
        .size:           8
        .value_kind:     global_buffer
      - .actual_access:  read_only
        .address_space:  global
        .offset:         16
        .size:           8
        .value_kind:     global_buffer
      - .actual_access:  read_only
        .address_space:  global
        .offset:         24
        .size:           8
        .value_kind:     global_buffer
      - .actual_access:  read_only
        .address_space:  global
        .offset:         32
        .size:           8
        .value_kind:     global_buffer
      - .actual_access:  read_only
        .address_space:  global
        .offset:         40
        .size:           8
        .value_kind:     global_buffer
      - .actual_access:  read_only
        .address_space:  global
        .offset:         48
        .size:           8
        .value_kind:     global_buffer
      - .actual_access:  read_only
        .address_space:  global
        .offset:         56
        .size:           8
        .value_kind:     global_buffer
      - .offset:         64
        .size:           1
        .value_kind:     by_value
      - .offset:         68
        .size:           4
        .value_kind:     by_value
      - .offset:         72
        .size:           4
        .value_kind:     by_value
      - .offset:         76
        .size:           4
        .value_kind:     by_value
      - .offset:         80
        .size:           4
        .value_kind:     by_value
      - .address_space:  global
        .offset:         88
        .size:           8
        .value_kind:     global_buffer
      - .actual_access:  write_only
        .address_space:  global
        .offset:         96
        .size:           8
        .value_kind:     global_buffer
      - .offset:         104
        .size:           4
        .value_kind:     hidden_block_count_x
      - .offset:         108
        .size:           4
        .value_kind:     hidden_block_count_y
      - .offset:         112
        .size:           4
        .value_kind:     hidden_block_count_z
      - .offset:         116
        .size:           2
        .value_kind:     hidden_group_size_x
      - .offset:         118
        .size:           2
        .value_kind:     hidden_group_size_y
      - .offset:         120
        .size:           2
        .value_kind:     hidden_group_size_z
      - .offset:         122
        .size:           2
        .value_kind:     hidden_remainder_x
      - .offset:         124
        .size:           2
        .value_kind:     hidden_remainder_y
      - .offset:         126
        .size:           2
        .value_kind:     hidden_remainder_z
      - .offset:         144
        .size:           8
        .value_kind:     hidden_global_offset_x
      - .offset:         152
        .size:           8
        .value_kind:     hidden_global_offset_y
      - .offset:         160
        .size:           8
        .value_kind:     hidden_global_offset_z
      - .offset:         168
        .size:           2
        .value_kind:     hidden_grid_dims
    .group_segment_fixed_size: 0
    .kernarg_segment_align: 8
    .kernarg_segment_size: 360
    .language:       OpenCL C
    .language_version:
      - 2
      - 0
    .max_flat_workgroup_size: 1024
    .name:           _Z19selective_scan_basePKfS0_S0_S0_S0_S0_S0_S0_biiiiPfS1_
    .private_segment_fixed_size: 0
    .sgpr_count:     32
    .sgpr_spill_count: 0
    .symbol:         _Z19selective_scan_basePKfS0_S0_S0_S0_S0_S0_S0_biiiiPfS1_.kd
    .uniform_work_group_size: 1
    .uses_dynamic_stack: false
    .vgpr_count:     24
    .vgpr_spill_count: 0
    .wavefront_size: 32
  - .args:
      - .offset:         0
        .size:           144
        .value_kind:     by_value
    .group_segment_fixed_size: 0
    .kernarg_segment_align: 8
    .kernarg_segment_size: 144
    .language:       OpenCL C
    .language_version:
      - 2
      - 0
    .max_flat_workgroup_size: 128
    .name:           _Z26selective_scan_vllm_kernelI18SSMFwdKernelTraitsILi128ELi4ELi8ELb1ELb1ELb1EEEv13SSMParamsBase
    .private_segment_fixed_size: 48
    .sgpr_count:     56
    .sgpr_spill_count: 0
    .symbol:         _Z26selective_scan_vllm_kernelI18SSMFwdKernelTraitsILi128ELi4ELi8ELb1ELb1ELb1EEEv13SSMParamsBase.kd
    .uniform_work_group_size: 1
    .uses_dynamic_stack: false
    .vgpr_count:     46
    .vgpr_spill_count: 0
    .wavefront_size: 32
  - .args:
      - .offset:         0
        .size:           144
        .value_kind:     by_value
    .group_segment_fixed_size: 0
    .kernarg_segment_align: 8
    .kernarg_segment_size: 144
    .language:       OpenCL C
    .language_version:
      - 2
      - 0
    .max_flat_workgroup_size: 128
    .name:           _Z26selective_scan_vllm_kernelI18SSMFwdKernelTraitsILi128ELi4ELi8ELb1ELb1ELb0EEEv13SSMParamsBase
    .private_segment_fixed_size: 48
    .sgpr_count:     60
    .sgpr_spill_count: 0
    .symbol:         _Z26selective_scan_vllm_kernelI18SSMFwdKernelTraitsILi128ELi4ELi8ELb1ELb1ELb0EEEv13SSMParamsBase.kd
    .uniform_work_group_size: 1
    .uses_dynamic_stack: false
    .vgpr_count:     45
    .vgpr_spill_count: 0
    .wavefront_size: 32
  - .args:
      - .offset:         0
        .size:           144
        .value_kind:     by_value
    .group_segment_fixed_size: 0
    .kernarg_segment_align: 8
    .kernarg_segment_size: 144
    .language:       OpenCL C
    .language_version:
      - 2
      - 0
    .max_flat_workgroup_size: 128
    .name:           _Z26selective_scan_vllm_kernelI18SSMFwdKernelTraitsILi128ELi4ELi8ELb1ELb0ELb1EEEv13SSMParamsBase
    .private_segment_fixed_size: 48
    .sgpr_count:     54
    .sgpr_spill_count: 0
    .symbol:         _Z26selective_scan_vllm_kernelI18SSMFwdKernelTraitsILi128ELi4ELi8ELb1ELb0ELb1EEEv13SSMParamsBase.kd
    .uniform_work_group_size: 1
    .uses_dynamic_stack: false
    .vgpr_count:     46
    .vgpr_spill_count: 0
    .wavefront_size: 32
  - .args:
      - .offset:         0
        .size:           144
        .value_kind:     by_value
    .group_segment_fixed_size: 0
    .kernarg_segment_align: 8
    .kernarg_segment_size: 144
    .language:       OpenCL C
    .language_version:
      - 2
      - 0
    .max_flat_workgroup_size: 128
    .name:           _Z26selective_scan_vllm_kernelI18SSMFwdKernelTraitsILi128ELi4ELi8ELb1ELb0ELb0EEEv13SSMParamsBase
    .private_segment_fixed_size: 48
    .sgpr_count:     60
    .sgpr_spill_count: 0
    .symbol:         _Z26selective_scan_vllm_kernelI18SSMFwdKernelTraitsILi128ELi4ELi8ELb1ELb0ELb0EEEv13SSMParamsBase.kd
    .uniform_work_group_size: 1
    .uses_dynamic_stack: false
    .vgpr_count:     45
    .vgpr_spill_count: 0
    .wavefront_size: 32
  - .args:
      - .offset:         0
        .size:           144
        .value_kind:     by_value
    .group_segment_fixed_size: 0
    .kernarg_segment_align: 8
    .kernarg_segment_size: 144
    .language:       OpenCL C
    .language_version:
      - 2
      - 0
    .max_flat_workgroup_size: 128
    .name:           _Z26selective_scan_vllm_kernelI18SSMFwdKernelTraitsILi128ELi4ELi8ELb0ELb1ELb1EEEv13SSMParamsBase
    .private_segment_fixed_size: 48
    .sgpr_count:     52
    .sgpr_spill_count: 0
    .symbol:         _Z26selective_scan_vllm_kernelI18SSMFwdKernelTraitsILi128ELi4ELi8ELb0ELb1ELb1EEEv13SSMParamsBase.kd
    .uniform_work_group_size: 1
    .uses_dynamic_stack: false
    .vgpr_count:     43
    .vgpr_spill_count: 0
    .wavefront_size: 32
  - .args:
      - .offset:         0
        .size:           144
        .value_kind:     by_value
    .group_segment_fixed_size: 0
    .kernarg_segment_align: 8
    .kernarg_segment_size: 144
    .language:       OpenCL C
    .language_version:
      - 2
      - 0
    .max_flat_workgroup_size: 128
    .name:           _Z26selective_scan_vllm_kernelI18SSMFwdKernelTraitsILi128ELi4ELi8ELb0ELb1ELb0EEEv13SSMParamsBase
    .private_segment_fixed_size: 48
    .sgpr_count:     58
    .sgpr_spill_count: 0
    .symbol:         _Z26selective_scan_vllm_kernelI18SSMFwdKernelTraitsILi128ELi4ELi8ELb0ELb1ELb0EEEv13SSMParamsBase.kd
    .uniform_work_group_size: 1
    .uses_dynamic_stack: false
    .vgpr_count:     45
    .vgpr_spill_count: 0
    .wavefront_size: 32
  - .args:
      - .offset:         0
        .size:           144
        .value_kind:     by_value
    .group_segment_fixed_size: 0
    .kernarg_segment_align: 8
    .kernarg_segment_size: 144
    .language:       OpenCL C
    .language_version:
      - 2
      - 0
    .max_flat_workgroup_size: 128
    .name:           _Z26selective_scan_vllm_kernelI18SSMFwdKernelTraitsILi128ELi4ELi8ELb0ELb0ELb1EEEv13SSMParamsBase
    .private_segment_fixed_size: 48
    .sgpr_count:     52
    .sgpr_spill_count: 0
    .symbol:         _Z26selective_scan_vllm_kernelI18SSMFwdKernelTraitsILi128ELi4ELi8ELb0ELb0ELb1EEEv13SSMParamsBase.kd
    .uniform_work_group_size: 1
    .uses_dynamic_stack: false
    .vgpr_count:     43
    .vgpr_spill_count: 0
    .wavefront_size: 32
  - .args:
      - .offset:         0
        .size:           144
        .value_kind:     by_value
    .group_segment_fixed_size: 0
    .kernarg_segment_align: 8
    .kernarg_segment_size: 144
    .language:       OpenCL C
    .language_version:
      - 2
      - 0
    .max_flat_workgroup_size: 128
    .name:           _Z26selective_scan_vllm_kernelI18SSMFwdKernelTraitsILi128ELi4ELi8ELb0ELb0ELb0EEEv13SSMParamsBase
    .private_segment_fixed_size: 48
    .sgpr_count:     58
    .sgpr_spill_count: 0
    .symbol:         _Z26selective_scan_vllm_kernelI18SSMFwdKernelTraitsILi128ELi4ELi8ELb0ELb0ELb0EEEv13SSMParamsBase.kd
    .uniform_work_group_size: 1
    .uses_dynamic_stack: false
    .vgpr_count:     45
    .vgpr_spill_count: 0
    .wavefront_size: 32
amdhsa.target:   amdgcn-amd-amdhsa--gfx1250
amdhsa.version:
  - 1
  - 2
...

	.end_amdgpu_metadata
